;; amdgpu-corpus repo=zjin-lcf/HeCBench kind=compiled arch=gfx906 opt=O3
	.amdgcn_target "amdgcn-amd-amdhsa--gfx906"
	.amdhsa_code_object_version 6
	.text
	.protected	_Z6kernelPfS_iiiiiffi   ; -- Begin function _Z6kernelPfS_iiiiiffi
	.globl	_Z6kernelPfS_iiiiiffi
	.p2align	8
	.type	_Z6kernelPfS_iiiiiffi,@function
_Z6kernelPfS_iiiiiffi:                  ; @_Z6kernelPfS_iiiiiffi
; %bb.0:
	s_load_dword s0, s[4:5], 0x3c
	s_load_dwordx8 s[8:15], s[4:5], 0x10
	s_waitcnt lgkmcnt(0)
	s_lshr_b32 s1, s0, 16
	s_and_b32 s0, s0, 0xffff
	s_mul_i32 s0, s6, s0
	s_add_i32 s0, s0, s9
	v_add_u32_e32 v2, s0, v0
	s_mul_i32 s0, s7, s1
	s_add_i32 s0, s0, s8
	v_add_u32_e32 v0, s0, v1
	v_cmp_ge_i32_e32 vcc, s10, v0
	v_cmp_ge_i32_e64 s[0:1], s11, v2
	s_and_b64 s[0:1], s[0:1], vcc
	s_and_saveexec_b64 s[2:3], s[0:1]
	s_cbranch_execz .LBB0_7
; %bb.1:
	v_add_u32_e32 v0, -1, v0
	v_mad_u64_u32 v[4:5], s[0:1], v0, s12, v[2:3]
	s_load_dwordx4 s[0:3], s[4:5], 0x0
	v_add_u32_e32 v3, -1, v4
	v_mul_lo_u32 v0, v3, 12
	s_waitcnt lgkmcnt(0)
	v_mov_b32_e32 v5, s1
	v_ashrrev_i32_e32 v1, 31, v0
	v_lshlrev_b64 v[0:1], 2, v[0:1]
	v_add_co_u32_e32 v0, vcc, s0, v0
	v_addc_co_u32_e32 v1, vcc, v5, v1, vcc
	global_load_dword v5, v[0:1], off
	s_waitcnt vmcnt(0)
	v_cmp_neq_f32_e32 vcc, 0, v5
	s_and_b64 exec, exec, vcc
	s_cbranch_execz .LBB0_7
; %bb.2:
	v_subrev_u32_e32 v3, s12, v3
	v_mul_lo_u32 v5, v3, 12
	v_mov_b32_e32 v3, s1
	v_mov_b32_e32 v12, s3
	v_ashrrev_i32_e32 v6, 31, v5
	v_lshlrev_b64 v[5:6], 2, v[5:6]
	v_add_co_u32_e32 v9, vcc, s0, v5
	v_addc_co_u32_e32 v10, vcc, v3, v6, vcc
	global_load_dwordx4 v[5:8], v[0:1], off offset:4
	global_load_dword v11, v[9:10], off offset:12
	v_not_b32_e32 v9, 19
	v_mov_b32_e32 v10, -1
	v_mad_u64_u32 v[9:10], s[4:5], v4, 12, v[9:10]
	v_ashrrev_i32_e32 v3, 31, v2
	v_lshlrev_b64 v[2:3], 2, v[2:3]
	v_ashrrev_i32_e32 v10, 31, v9
	v_add_co_u32_e32 v2, vcc, s2, v2
	v_lshlrev_b64 v[9:10], 2, v[9:10]
	v_addc_co_u32_e32 v3, vcc, v12, v3, vcc
	global_load_dwordx2 v[2:3], v[2:3], off offset:-4
	v_mov_b32_e32 v4, s1
	v_add_co_u32_e32 v9, vcc, s0, v9
	v_addc_co_u32_e32 v10, vcc, v4, v10, vcc
	global_load_dword v4, v[9:10], off
	global_load_dword v12, v[0:1], off offset:20
	s_waitcnt vmcnt(3)
	v_sub_f32_e32 v7, v7, v11
	s_waitcnt vmcnt(2)
	v_fmac_f32_e32 v7, v8, v3
	s_waitcnt vmcnt(1)
	v_fma_f32 v2, -v4, v2, v7
	s_waitcnt vmcnt(0)
	v_fma_f32 v2, -v12, v2, v5
	v_cmp_nlt_f32_e64 vcc, |v2|, s13
	v_cndmask_b32_e32 v3, 0, v2, vcc
	v_cmp_gt_f32_e32 vcc, v3, v6
	global_store_dword v[0:1], v3, off offset:4
	s_and_saveexec_b64 s[0:1], vcc
	s_cbranch_execz .LBB0_4
; %bb.3:
	global_store_dword v[0:1], v3, off offset:8
.LBB0_4:
	s_or_b64 exec, exec, s[0:1]
	v_cmp_eq_f32_e64 s[0:1], s14, 0
	s_and_b64 vcc, exec, s[0:1]
	s_cbranch_vccnz .LBB0_7
; %bb.5:
	global_load_dword v3, v[0:1], off offset:40
	v_cmp_gt_f32_e64 s[0:1], |v2|, s14
	s_waitcnt vmcnt(0)
	v_cmp_gt_f32_e32 vcc, 0, v3
	s_and_b64 s[0:1], s[0:1], vcc
	s_and_b64 exec, exec, s[0:1]
	s_cbranch_execz .LBB0_7
; %bb.6:
	v_cvt_f32_i32_e32 v2, s15
	global_store_dword v[0:1], v2, off offset:40
.LBB0_7:
	s_endpgm
	.section	.rodata,"a",@progbits
	.p2align	6, 0x0
	.amdhsa_kernel _Z6kernelPfS_iiiiiffi
		.amdhsa_group_segment_fixed_size 0
		.amdhsa_private_segment_fixed_size 0
		.amdhsa_kernarg_size 304
		.amdhsa_user_sgpr_count 6
		.amdhsa_user_sgpr_private_segment_buffer 1
		.amdhsa_user_sgpr_dispatch_ptr 0
		.amdhsa_user_sgpr_queue_ptr 0
		.amdhsa_user_sgpr_kernarg_segment_ptr 1
		.amdhsa_user_sgpr_dispatch_id 0
		.amdhsa_user_sgpr_flat_scratch_init 0
		.amdhsa_user_sgpr_private_segment_size 0
		.amdhsa_uses_dynamic_stack 0
		.amdhsa_system_sgpr_private_segment_wavefront_offset 0
		.amdhsa_system_sgpr_workgroup_id_x 1
		.amdhsa_system_sgpr_workgroup_id_y 1
		.amdhsa_system_sgpr_workgroup_id_z 0
		.amdhsa_system_sgpr_workgroup_info 0
		.amdhsa_system_vgpr_workitem_id 1
		.amdhsa_next_free_vgpr 13
		.amdhsa_next_free_sgpr 16
		.amdhsa_reserve_vcc 1
		.amdhsa_reserve_flat_scratch 0
		.amdhsa_float_round_mode_32 0
		.amdhsa_float_round_mode_16_64 0
		.amdhsa_float_denorm_mode_32 3
		.amdhsa_float_denorm_mode_16_64 3
		.amdhsa_dx10_clamp 1
		.amdhsa_ieee_mode 1
		.amdhsa_fp16_overflow 0
		.amdhsa_exception_fp_ieee_invalid_op 0
		.amdhsa_exception_fp_denorm_src 0
		.amdhsa_exception_fp_ieee_div_zero 0
		.amdhsa_exception_fp_ieee_overflow 0
		.amdhsa_exception_fp_ieee_underflow 0
		.amdhsa_exception_fp_ieee_inexact 0
		.amdhsa_exception_int_div_zero 0
	.end_amdhsa_kernel
	.text
.Lfunc_end0:
	.size	_Z6kernelPfS_iiiiiffi, .Lfunc_end0-_Z6kernelPfS_iiiiiffi
                                        ; -- End function
	.set _Z6kernelPfS_iiiiiffi.num_vgpr, 13
	.set _Z6kernelPfS_iiiiiffi.num_agpr, 0
	.set _Z6kernelPfS_iiiiiffi.numbered_sgpr, 16
	.set _Z6kernelPfS_iiiiiffi.num_named_barrier, 0
	.set _Z6kernelPfS_iiiiiffi.private_seg_size, 0
	.set _Z6kernelPfS_iiiiiffi.uses_vcc, 1
	.set _Z6kernelPfS_iiiiiffi.uses_flat_scratch, 0
	.set _Z6kernelPfS_iiiiiffi.has_dyn_sized_stack, 0
	.set _Z6kernelPfS_iiiiiffi.has_recursion, 0
	.set _Z6kernelPfS_iiiiiffi.has_indirect_call, 0
	.section	.AMDGPU.csdata,"",@progbits
; Kernel info:
; codeLenInByte = 456
; TotalNumSgprs: 20
; NumVgprs: 13
; ScratchSize: 0
; MemoryBound: 0
; FloatMode: 240
; IeeeMode: 1
; LDSByteSize: 0 bytes/workgroup (compile time only)
; SGPRBlocks: 2
; VGPRBlocks: 3
; NumSGPRsForWavesPerEU: 20
; NumVGPRsForWavesPerEU: 13
; Occupancy: 10
; WaveLimiterHint : 0
; COMPUTE_PGM_RSRC2:SCRATCH_EN: 0
; COMPUTE_PGM_RSRC2:USER_SGPR: 6
; COMPUTE_PGM_RSRC2:TRAP_HANDLER: 0
; COMPUTE_PGM_RSRC2:TGID_X_EN: 1
; COMPUTE_PGM_RSRC2:TGID_Y_EN: 1
; COMPUTE_PGM_RSRC2:TGID_Z_EN: 0
; COMPUTE_PGM_RSRC2:TIDIG_COMP_CNT: 1
	.text
	.protected	_Z7kernel2PfPKfS1_S1_S1_iiiiii ; -- Begin function _Z7kernel2PfPKfS1_S1_S1_iiiiii
	.globl	_Z7kernel2PfPKfS1_S1_S1_iiiiii
	.p2align	8
	.type	_Z7kernel2PfPKfS1_S1_S1_iiiiii,@function
_Z7kernel2PfPKfS1_S1_S1_iiiiii:         ; @_Z7kernel2PfPKfS1_S1_S1_iiiiii
; %bb.0:
	s_load_dwordx4 s[20:23], s[4:5], 0x28
	s_load_dwordx2 s[10:11], s[4:5], 0x38
	s_load_dwordx2 s[26:27], s[4:5], 0x20
	s_load_dwordx8 s[12:19], s[4:5], 0x0
	s_waitcnt lgkmcnt(0)
	s_cmp_lt_i32 s21, 3
	s_cselect_b64 s[24:25], -1, 0
	s_cmp_gt_i32 s11, 2
	s_cselect_b64 s[8:9], -1, 0
	s_and_b64 s[0:1], s[24:25], s[8:9]
	s_andn2_b64 vcc, exec, s[0:1]
	s_mul_i32 s33, s10, 12
	s_cbranch_vccnz .LBB1_3
; %bb.1:
	s_add_i32 s36, s11, -2
	s_add_u32 s6, s14, 8
	s_addc_u32 s7, s15, 0
	s_mov_b32 s34, 0
	v_mov_b32_e32 v2, 0
	s_mov_b32 s37, 0x3f2aaaab
	v_mov_b32_e32 v3, 0x3ecccdef
	s_mov_b32 s38, 0x3f317218
	s_movk_i32 s39, 0x204
	s_mov_b32 s40, 0x7f800000
	s_mov_b32 s41, 0x42b17218
	v_mov_b32_e32 v4, 0x37000000
	s_mov_b32 s42, 0x3fb8aa3b
	s_mov_b32 s43, 0xc2ce8ed0
	v_mov_b32_e32 v5, 0x7f800000
	s_brev_b32 s44, -2
	v_mov_b32_e32 v6, 0x7fc00000
	s_mov_b32 s45, 0xf800000
	v_mov_b32_e32 v7, 0x260
.LBB1_2:                                ; =>This Inner Loop Header: Depth=1
	s_add_i32 s30, s33, s34
	s_ashr_i32 s31, s30, 31
	s_lshl_b64 s[0:1], s[30:31], 2
	s_add_u32 s28, s12, s0
	s_addc_u32 s29, s13, s1
	global_load_dwordx2 v[0:1], v2, s[28:29] offset:12
	global_load_dword v9, v2, s[6:7]
	v_mov_b32_e32 v8, 0x3e91f4c4
	s_ashr_i32 s35, s34, 31
	s_waitcnt vmcnt(1)
	v_frexp_mant_f32_e64 v13, |v1|
	v_cmp_eq_f32_e32 vcc, 1.0, v1
	v_cmp_gt_f32_e64 s[2:3], s37, v13
	v_cndmask_b32_e64 v12, 2.0, 1.0, vcc
	v_cndmask_b32_e64 v15, 1.0, 2.0, s[2:3]
	v_mul_f32_e32 v17, 0.5, v12
	v_mul_f32_e32 v13, v13, v15
	v_cvt_f64_f32_e64 v[10:11], |v1|
	v_trunc_f32_e32 v15, v17
	v_add_f32_e32 v18, 1.0, v13
	v_trunc_f32_e32 v16, v12
	v_cmp_neq_f32_e64 s[4:5], v15, v17
	v_rcp_f32_e32 v17, v18
	v_cmp_eq_f32_e64 s[0:1], v16, v12
	v_cmp_eq_f32_e32 vcc, 0, v1
	s_and_b64 s[4:5], s[0:1], s[4:5]
	v_cndmask_b32_e64 v14, v5, 0, vcc
	v_add_f32_e32 v16, -1.0, v13
	v_frexp_exp_i32_f64_e32 v19, v[10:11]
	v_cndmask_b32_e64 v10, 0, v1, s[4:5]
	v_add_f32_e32 v15, -1.0, v18
	v_bfi_b32 v10, s44, v14, v10
	v_mul_f32_e32 v14, v16, v17
	v_sub_f32_e32 v13, v13, v15
	v_mul_f32_e32 v15, v18, v14
	v_fma_f32 v18, v14, v18, -v15
	v_fmac_f32_e32 v18, v14, v13
	v_add_f32_e32 v13, v15, v18
	v_sub_f32_e32 v15, v13, v15
	v_sub_f32_e32 v15, v15, v18
	;; [unrolled: 1-line block ×5, first 2 shown]
	v_add_f32_e32 v13, v15, v13
	v_add_f32_e32 v13, v18, v13
	v_mul_f32_e32 v13, v17, v13
	v_add_f32_e32 v15, v14, v13
	v_sub_f32_e32 v14, v15, v14
	v_mul_f32_e32 v16, v15, v15
	v_sub_f32_e32 v13, v13, v14
	v_fma_f32 v14, v15, v15, -v16
	v_add_f32_e32 v17, v13, v13
	v_fmac_f32_e32 v14, v15, v17
	v_add_f32_e32 v17, v16, v14
	v_fmac_f32_e32 v8, 0x3e76c4e1, v17
	v_sub_f32_e32 v16, v17, v16
	v_mul_f32_e32 v18, v15, v17
	v_fma_f32 v8, v17, v8, v3
	v_sub_f32_e32 v14, v14, v16
	v_fma_f32 v16, v17, v15, -v18
	v_mul_f32_e32 v20, v17, v8
	v_fmac_f32_e32 v16, v17, v13
	v_fma_f32 v17, v17, v8, -v20
	v_fmac_f32_e32 v17, v14, v8
	v_add_f32_e32 v8, v20, v17
	v_fmac_f32_e32 v16, v14, v15
	v_sub_f32_e32 v14, v8, v20
	v_sub_f32_e32 v14, v17, v14
	v_add_f32_e32 v17, 0x3f2aaaaa, v8
	v_add_f32_e32 v20, 0xbf2aaaaa, v17
	v_sub_f32_e32 v8, v8, v20
	v_add_f32_e32 v14, 0x31739010, v14
	v_add_f32_e32 v8, v14, v8
	;; [unrolled: 1-line block ×3, first 2 shown]
	v_sub_f32_e32 v17, v17, v14
	v_add_f32_e32 v8, v8, v17
	v_add_f32_e32 v17, v18, v16
	v_mul_f32_e32 v20, v17, v14
	v_fma_f32 v21, v17, v14, -v20
	v_fmac_f32_e32 v21, v17, v8
	v_sub_f32_e32 v8, v17, v18
	v_subbrev_co_u32_e64 v17, s[2:3], 0, v19, s[2:3]
	v_cvt_f32_i32_e32 v17, v17
	v_sub_f32_e32 v8, v16, v8
	v_fmac_f32_e32 v21, v8, v14
	v_ldexp_f32 v15, v15, 1
	v_mul_f32_e32 v8, 0x3f317218, v17
	v_fma_f32 v14, v17, s38, -v8
	v_fmac_f32_e32 v14, 0xb102e308, v17
	v_add_f32_e32 v17, v8, v14
	v_sub_f32_e32 v8, v17, v8
	v_sub_f32_e32 v8, v14, v8
	v_add_f32_e32 v14, v20, v21
	v_sub_f32_e32 v18, v14, v20
	v_add_f32_e32 v19, v15, v14
	v_ldexp_f32 v13, v13, 1
	v_sub_f32_e32 v18, v21, v18
	v_sub_f32_e32 v15, v19, v15
	;; [unrolled: 1-line block ×3, first 2 shown]
	v_add_f32_e32 v13, v13, v18
	v_add_f32_e32 v13, v13, v14
	;; [unrolled: 1-line block ×3, first 2 shown]
	v_sub_f32_e32 v15, v14, v19
	v_add_f32_e32 v18, v17, v14
	v_sub_f32_e32 v13, v13, v15
	v_sub_f32_e32 v15, v18, v17
	;; [unrolled: 1-line block ×4, first 2 shown]
	v_add_f32_e32 v15, v8, v13
	v_sub_f32_e32 v17, v17, v19
	v_sub_f32_e32 v19, v15, v8
	v_add_f32_e32 v14, v14, v17
	v_sub_f32_e32 v17, v15, v19
	v_sub_f32_e32 v13, v13, v19
	;; [unrolled: 1-line block ×3, first 2 shown]
	v_add_f32_e32 v14, v15, v14
	v_add_f32_e32 v8, v13, v8
	;; [unrolled: 1-line block ×3, first 2 shown]
	v_sub_f32_e32 v15, v13, v18
	v_sub_f32_e32 v14, v14, v15
	v_add_f32_e32 v8, v8, v14
	v_add_f32_e32 v14, v13, v8
	v_sub_f32_e32 v13, v14, v13
	v_mul_f32_e32 v15, v12, v14
	v_sub_f32_e32 v8, v8, v13
	v_fma_f32 v13, v12, v14, -v15
	v_fmac_f32_e32 v13, v12, v8
	v_add_f32_e32 v8, v15, v13
	v_cmp_class_f32_e64 s[2:3], v15, s39
	v_sub_f32_e32 v12, v8, v15
	v_cndmask_b32_e64 v8, v8, v15, s[2:3]
	v_cmp_eq_f32_e64 s[2:3], s41, v8
	v_sub_f32_e32 v12, v13, v12
	v_cndmask_b32_e64 v13, 0, v4, s[2:3]
	v_cmp_neq_f32_e64 s[2:3], |v8|, s40
	v_cndmask_b32_e64 v12, 0, v12, s[2:3]
	v_sub_f32_e32 v8, v8, v13
	v_add_f32_e32 v12, v13, v12
	v_mul_f32_e32 v13, 0x3fb8aa3b, v8
	v_fma_f32 v14, v8, s42, -v13
	v_rndne_f32_e32 v15, v13
	v_fmac_f32_e32 v14, 0x32a5705f, v8
	v_sub_f32_e32 v13, v13, v15
	v_add_f32_e32 v13, v13, v14
	v_cvt_i32_f32_e32 v15, v15
	v_exp_f32_e32 v13, v13
	v_cmp_ngt_f32_e64 s[2:3], s43, v8
	v_cndmask_b32_e64 v11, 1.0, v1, s[4:5]
	s_lshl_b64 s[4:5], s[34:35], 2
	v_ldexp_f32 v13, v13, v15
	v_cndmask_b32_e64 v13, 0, v13, s[2:3]
	v_cmp_nlt_f32_e64 s[2:3], s41, v8
	v_cndmask_b32_e64 v8, v5, v13, s[2:3]
	v_fma_f32 v12, v8, v12, v8
	v_cmp_class_f32_e64 s[2:3], v8, s39
	v_cndmask_b32_e64 v8, v12, v8, s[2:3]
	v_cmp_class_f32_e64 s[34:35], v1, s39
	v_bfi_b32 v8, s44, v8, v11
	v_cndmask_b32_e64 v11, v6, v8, s[0:1]
	v_cmp_gt_f32_e64 s[0:1], 0, v1
	s_or_b64 vcc, vcc, s[34:35]
	v_cndmask_b32_e64 v8, v8, v11, s[0:1]
	s_add_u32 s0, s12, s4
	s_addc_u32 s1, s13, s5
	v_cndmask_b32_e32 v12, v8, v10, vcc
	global_load_dword v8, v2, s[0:1] offset:12
	v_mov_b32_e32 v16, 0x3e91f4c4
	s_add_i32 s36, s36, -1
	s_mov_b32 s34, s30
	s_waitcnt vmcnt(0)
	v_add_f32_e32 v0, v0, v8
	v_frexp_mant_f32_e64 v13, |v0|
	v_cmp_eq_f32_e32 vcc, 1.0, v0
	v_cmp_gt_f32_e64 s[2:3], s37, v13
	v_cndmask_b32_e64 v8, 2.0, 1.0, vcc
	v_cndmask_b32_e64 v14, 1.0, 2.0, s[2:3]
	v_mul_f32_e32 v17, 0.5, v8
	v_mul_f32_e32 v13, v13, v14
	v_trunc_f32_e32 v14, v17
	v_add_f32_e32 v18, 1.0, v13
	v_cvt_f64_f32_e64 v[10:11], |v0|
	v_cmp_neq_f32_e64 s[4:5], v14, v17
	v_rcp_f32_e32 v14, v18
	v_trunc_f32_e32 v15, v8
	v_cmp_eq_f32_e32 vcc, v15, v8
	v_add_f32_e32 v15, -1.0, v13
	v_add_f32_e32 v17, -1.0, v18
	v_frexp_exp_i32_f64_e32 v10, v[10:11]
	v_sub_f32_e32 v11, v13, v17
	v_mul_f32_e32 v13, v15, v14
	v_mul_f32_e32 v17, v18, v13
	v_fma_f32 v18, v13, v18, -v17
	v_fmac_f32_e32 v18, v13, v11
	v_add_f32_e32 v11, v17, v18
	v_sub_f32_e32 v17, v11, v17
	v_sub_f32_e32 v17, v17, v18
	;; [unrolled: 1-line block ×5, first 2 shown]
	v_add_f32_e32 v11, v17, v11
	v_add_f32_e32 v11, v18, v11
	v_mul_f32_e32 v11, v14, v11
	v_add_f32_e32 v14, v13, v11
	v_sub_f32_e32 v13, v14, v13
	v_mul_f32_e32 v15, v14, v14
	v_sub_f32_e32 v11, v11, v13
	v_fma_f32 v13, v14, v14, -v15
	v_add_f32_e32 v17, v11, v11
	v_fmac_f32_e32 v13, v14, v17
	v_add_f32_e32 v17, v15, v13
	v_fmac_f32_e32 v16, 0x3e76c4e1, v17
	v_sub_f32_e32 v15, v17, v15
	v_mul_f32_e32 v18, v14, v17
	v_fma_f32 v16, v17, v16, v3
	v_sub_f32_e32 v13, v13, v15
	v_fma_f32 v15, v17, v14, -v18
	v_mul_f32_e32 v19, v17, v16
	v_fmac_f32_e32 v15, v17, v11
	v_fma_f32 v17, v17, v16, -v19
	v_fmac_f32_e32 v17, v13, v16
	v_fmac_f32_e32 v15, v13, v14
	v_add_f32_e32 v13, v19, v17
	v_sub_f32_e32 v16, v13, v19
	v_sub_f32_e32 v16, v17, v16
	v_add_f32_e32 v17, 0x3f2aaaaa, v13
	v_add_f32_e32 v19, 0xbf2aaaaa, v17
	v_sub_f32_e32 v13, v13, v19
	v_add_f32_e32 v16, 0x31739010, v16
	v_add_f32_e32 v13, v16, v13
	v_add_f32_e32 v16, v17, v13
	v_sub_f32_e32 v17, v17, v16
	v_add_f32_e32 v13, v13, v17
	v_add_f32_e32 v17, v18, v15
	v_mul_f32_e32 v19, v17, v16
	v_subbrev_co_u32_e64 v10, s[2:3], 0, v10, s[2:3]
	v_fma_f32 v20, v17, v16, -v19
	v_cvt_f32_i32_e32 v10, v10
	v_fmac_f32_e32 v20, v17, v13
	v_sub_f32_e32 v13, v17, v18
	v_cmp_eq_f32_e64 s[0:1], 0, v0
	v_sub_f32_e32 v13, v15, v13
	s_and_b64 s[4:5], vcc, s[4:5]
	v_cndmask_b32_e64 v15, v5, 0, s[0:1]
	v_fmac_f32_e32 v20, v13, v16
	v_cndmask_b32_e64 v16, 0, v0, s[4:5]
	v_bfi_b32 v15, s44, v15, v16
	v_mul_f32_e32 v16, 0x3f317218, v10
	v_fma_f32 v17, v10, s38, -v16
	v_fmac_f32_e32 v17, 0xb102e308, v10
	v_add_f32_e32 v10, v16, v17
	v_sub_f32_e32 v16, v10, v16
	v_sub_f32_e32 v16, v17, v16
	v_add_f32_e32 v17, v19, v20
	v_ldexp_f32 v14, v14, 1
	v_sub_f32_e32 v18, v17, v19
	v_add_f32_e32 v19, v14, v17
	v_sub_f32_e32 v18, v20, v18
	v_sub_f32_e32 v14, v19, v14
	v_ldexp_f32 v11, v11, 1
	v_sub_f32_e32 v14, v17, v14
	v_add_f32_e32 v11, v11, v18
	v_add_f32_e32 v11, v11, v14
	;; [unrolled: 1-line block ×3, first 2 shown]
	v_sub_f32_e32 v17, v14, v19
	v_add_f32_e32 v18, v10, v14
	v_sub_f32_e32 v11, v11, v17
	v_sub_f32_e32 v17, v18, v10
	;; [unrolled: 1-line block ×5, first 2 shown]
	v_add_f32_e32 v17, v16, v11
	v_add_f32_e32 v10, v14, v10
	v_sub_f32_e32 v14, v17, v16
	v_sub_f32_e32 v11, v11, v14
	;; [unrolled: 1-line block ×4, first 2 shown]
	v_add_f32_e32 v10, v17, v10
	v_add_f32_e32 v11, v11, v14
	;; [unrolled: 1-line block ×3, first 2 shown]
	v_sub_f32_e32 v16, v14, v18
	v_sub_f32_e32 v10, v10, v16
	v_add_f32_e32 v10, v11, v10
	v_add_f32_e32 v11, v14, v10
	v_sub_f32_e32 v14, v11, v14
	v_mul_f32_e32 v16, v8, v11
	v_sub_f32_e32 v10, v10, v14
	v_fma_f32 v11, v8, v11, -v16
	v_cmp_o_f32_e64 s[2:3], v1, v1
	v_fmac_f32_e32 v11, v8, v10
	v_cndmask_b32_e64 v12, v6, v12, s[2:3]
	v_add_f32_e32 v8, v16, v11
	v_cmp_class_f32_e64 s[2:3], v16, s39
	v_sub_f32_e32 v10, v8, v16
	v_cndmask_b32_e64 v8, v8, v16, s[2:3]
	v_cmp_eq_f32_e64 s[2:3], s41, v8
	v_sub_f32_e32 v10, v11, v10
	v_cndmask_b32_e64 v11, 0, v4, s[2:3]
	v_cmp_neq_f32_e64 s[2:3], |v8|, s40
	v_cndmask_b32_e64 v10, 0, v10, s[2:3]
	v_sub_f32_e32 v8, v8, v11
	v_add_f32_e32 v10, v11, v10
	v_mul_f32_e32 v11, 0x3fb8aa3b, v8
	v_fma_f32 v14, v8, s42, -v11
	v_rndne_f32_e32 v16, v11
	v_fmac_f32_e32 v14, 0x32a5705f, v8
	v_sub_f32_e32 v11, v11, v16
	v_add_f32_e32 v11, v11, v14
	v_cvt_i32_f32_e32 v16, v16
	v_exp_f32_e32 v11, v11
	v_cmp_ngt_f32_e64 s[2:3], s43, v8
	v_cndmask_b32_e64 v13, 1.0, v0, s[4:5]
	v_cmp_class_f32_e64 s[4:5], v0, s39
	v_ldexp_f32 v11, v11, v16
	v_cndmask_b32_e64 v11, 0, v11, s[2:3]
	v_cmp_nlt_f32_e64 s[2:3], s41, v8
	v_cndmask_b32_e64 v8, v5, v11, s[2:3]
	v_fma_f32 v10, v8, v10, v8
	v_cmp_class_f32_e64 s[2:3], v8, s39
	v_cndmask_b32_e64 v8, v10, v8, s[2:3]
	v_bfi_b32 v8, s44, v8, v13
	v_cndmask_b32_e32 v10, v6, v8, vcc
	v_cmp_gt_f32_e32 vcc, 0, v0
	v_cndmask_b32_e32 v8, v8, v10, vcc
	s_or_b64 vcc, s[0:1], s[4:5]
	v_cndmask_b32_e32 v8, v8, v15, vcc
	v_mul_f32_e32 v8, 0x3e800000, v8
	v_cmp_o_f32_e32 vcc, v0, v0
	v_cndmask_b32_e32 v0, v6, v8, vcc
	v_add_f32_e32 v0, v12, v0
	v_mul_f32_e32 v8, 0x4f800000, v0
	v_cmp_gt_f32_e32 vcc, s45, v0
	v_cndmask_b32_e32 v0, v0, v8, vcc
	v_sqrt_f32_e32 v8, v0
	s_add_u32 s6, s6, 4
	s_addc_u32 s7, s7, 0
	s_cmp_lg_u32 s36, 0
	v_add_u32_e32 v10, -1, v8
	v_add_u32_e32 v11, 1, v8
	v_fma_f32 v12, -v10, v8, v0
	v_fma_f32 v13, -v11, v8, v0
	v_cmp_ge_f32_e64 s[0:1], 0, v12
	v_cndmask_b32_e64 v8, v8, v10, s[0:1]
	v_cmp_lt_f32_e64 s[0:1], 0, v13
	v_cndmask_b32_e64 v8, v8, v11, s[0:1]
	v_mul_f32_e32 v10, 0x37800000, v8
	v_cndmask_b32_e32 v8, v8, v10, vcc
	v_cmp_class_f32_e32 vcc, v0, v7
	v_cndmask_b32_e32 v0, v8, v0, vcc
	v_mul_f32_e32 v0, v9, v0
	v_cmp_lt_f32_e32 vcc, 0, v1
	v_cndmask_b32_e64 v0, v0, -v0, vcc
	global_store_dword v2, v0, s[28:29] offset:4
	s_cbranch_scc1 .LBB1_2
.LBB1_3:
	s_cmp_gt_i32 s20, 2
	s_cselect_b64 s[0:1], -1, 0
	s_cmp_gt_i32 s10, 2
	s_cselect_b64 s[28:29], -1, 0
	s_cmp_lt_i32 s10, 3
	s_cselect_b64 s[2:3], -1, 0
	s_or_b64 s[0:1], s[0:1], s[2:3]
	s_and_b64 vcc, exec, s[0:1]
	s_cbranch_vccnz .LBB1_8
; %bb.4:
	s_add_i32 s20, s10, -2
	s_add_u32 s16, s16, 8
	s_addc_u32 s17, s17, 0
	s_mov_b32 s30, 13
	v_mov_b32_e32 v2, 0
	s_mov_b32 s36, 0x3f2aaaab
	v_mov_b32_e32 v3, 0x3ecccdef
	s_mov_b32 s37, 0x3f317218
	s_movk_i32 s38, 0x204
	s_mov_b32 s39, 0x7f800000
	s_mov_b32 s40, 0x42b17218
	v_mov_b32_e32 v4, 0x37000000
	s_mov_b32 s41, 0x3fb8aa3b
	s_mov_b32 s42, 0xc2ce8ed0
	v_mov_b32_e32 v5, 0x7f800000
	s_brev_b32 s43, -2
	v_mov_b32_e32 v6, 0x7fc00000
	s_mov_b32 s44, 0xf800000
	v_mov_b32_e32 v7, 0x260
	s_branch .LBB1_6
.LBB1_5:                                ;   in Loop: Header=BB1_6 Depth=1
	s_add_i32 s20, s20, -1
	s_add_i32 s30, s30, 12
	s_add_u32 s16, s16, 4
	s_addc_u32 s17, s17, 0
	s_cmp_lg_u32 s20, 0
	s_cbranch_scc0 .LBB1_8
.LBB1_6:                                ; =>This Inner Loop Header: Depth=1
	s_add_i32 s0, s30, -1
	s_ashr_i32 s1, s0, 31
	s_lshl_b64 s[0:1], s[0:1], 2
	s_add_u32 s34, s12, s0
	s_addc_u32 s35, s13, s1
	global_load_dwordx2 v[0:1], v2, s[34:35] offset:12
	global_load_dword v9, v2, s[16:17]
	v_mov_b32_e32 v8, 0x3e91f4c4
	s_waitcnt vmcnt(1)
	v_frexp_mant_f32_e64 v13, |v0|
	v_cmp_eq_f32_e32 vcc, 1.0, v0
	v_cmp_gt_f32_e64 s[2:3], s36, v13
	v_cndmask_b32_e64 v12, 2.0, 1.0, vcc
	v_cvt_f64_f32_e64 v[10:11], |v0|
	v_cndmask_b32_e64 v15, 1.0, 2.0, s[2:3]
	v_mul_f32_e32 v17, 0.5, v12
	v_mul_f32_e32 v13, v13, v15
	v_trunc_f32_e32 v15, v17
	v_add_f32_e32 v18, 1.0, v13
	v_trunc_f32_e32 v16, v12
	v_cmp_neq_f32_e64 s[4:5], v15, v17
	v_rcp_f32_e32 v17, v18
	v_cmp_eq_f32_e64 s[0:1], v16, v12
	v_frexp_exp_i32_f64_e32 v19, v[10:11]
	v_cmp_eq_f32_e32 vcc, 0, v0
	s_and_b64 s[4:5], s[0:1], s[4:5]
	v_cndmask_b32_e64 v14, v5, 0, vcc
	v_add_f32_e32 v16, -1.0, v13
	v_cndmask_b32_e64 v10, 0, v0, s[4:5]
	v_add_f32_e32 v15, -1.0, v18
	v_bfi_b32 v10, s43, v14, v10
	v_mul_f32_e32 v14, v16, v17
	v_sub_f32_e32 v13, v13, v15
	v_mul_f32_e32 v15, v18, v14
	v_fma_f32 v18, v14, v18, -v15
	v_fmac_f32_e32 v18, v14, v13
	v_add_f32_e32 v13, v15, v18
	v_subbrev_co_u32_e64 v19, s[2:3], 0, v19, s[2:3]
	v_sub_f32_e32 v15, v13, v15
	v_sub_f32_e32 v15, v15, v18
	;; [unrolled: 1-line block ×3, first 2 shown]
	v_cvt_f32_i32_e32 v19, v19
	v_sub_f32_e32 v16, v16, v18
	v_sub_f32_e32 v13, v16, v13
	v_add_f32_e32 v13, v15, v13
	v_add_f32_e32 v13, v18, v13
	v_mul_f32_e32 v15, 0x3f317218, v19
	v_mul_f32_e32 v13, v17, v13
	v_fma_f32 v16, v19, s37, -v15
	v_add_f32_e32 v17, v14, v13
	v_fmac_f32_e32 v16, 0xb102e308, v19
	v_sub_f32_e32 v14, v17, v14
	v_add_f32_e32 v19, v15, v16
	v_mul_f32_e32 v18, v17, v17
	v_sub_f32_e32 v13, v13, v14
	v_sub_f32_e32 v15, v19, v15
	v_fma_f32 v14, v17, v17, -v18
	v_sub_f32_e32 v15, v16, v15
	v_add_f32_e32 v16, v13, v13
	v_fmac_f32_e32 v14, v17, v16
	v_add_f32_e32 v16, v18, v14
	v_fmac_f32_e32 v8, 0x3e76c4e1, v16
	v_sub_f32_e32 v18, v16, v18
	v_sub_f32_e32 v14, v14, v18
	v_mul_f32_e32 v18, v17, v16
	v_fma_f32 v8, v16, v8, v3
	v_fma_f32 v20, v16, v17, -v18
	v_mul_f32_e32 v21, v16, v8
	v_fmac_f32_e32 v20, v16, v13
	v_fma_f32 v16, v16, v8, -v21
	v_fmac_f32_e32 v16, v14, v8
	v_add_f32_e32 v8, v21, v16
	v_fmac_f32_e32 v20, v14, v17
	v_sub_f32_e32 v14, v8, v21
	v_sub_f32_e32 v14, v16, v14
	v_add_f32_e32 v16, 0x3f2aaaaa, v8
	v_add_f32_e32 v21, 0xbf2aaaaa, v16
	v_sub_f32_e32 v8, v8, v21
	v_add_f32_e32 v14, 0x31739010, v14
	v_add_f32_e32 v8, v14, v8
	;; [unrolled: 1-line block ×3, first 2 shown]
	v_sub_f32_e32 v16, v16, v14
	v_add_f32_e32 v8, v8, v16
	v_add_f32_e32 v16, v18, v20
	v_mul_f32_e32 v21, v16, v14
	v_fma_f32 v22, v16, v14, -v21
	v_fmac_f32_e32 v22, v16, v8
	v_sub_f32_e32 v8, v16, v18
	v_sub_f32_e32 v8, v20, v8
	v_fmac_f32_e32 v22, v8, v14
	v_ldexp_f32 v16, v17, 1
	v_add_f32_e32 v8, v21, v22
	v_sub_f32_e32 v14, v8, v21
	v_add_f32_e32 v17, v16, v8
	v_ldexp_f32 v13, v13, 1
	v_sub_f32_e32 v14, v22, v14
	v_sub_f32_e32 v16, v17, v16
	;; [unrolled: 1-line block ×3, first 2 shown]
	v_add_f32_e32 v13, v13, v14
	v_add_f32_e32 v8, v13, v8
	v_add_f32_e32 v13, v17, v8
	v_sub_f32_e32 v14, v13, v17
	v_add_f32_e32 v16, v19, v13
	v_sub_f32_e32 v8, v8, v14
	v_sub_f32_e32 v14, v16, v19
	;; [unrolled: 1-line block ×4, first 2 shown]
	v_add_f32_e32 v14, v15, v8
	v_sub_f32_e32 v17, v19, v17
	v_sub_f32_e32 v18, v14, v15
	v_add_f32_e32 v13, v13, v17
	v_sub_f32_e32 v17, v14, v18
	v_add_f32_e32 v13, v14, v13
	v_sub_f32_e32 v8, v8, v18
	v_sub_f32_e32 v15, v15, v17
	v_add_f32_e32 v14, v16, v13
	v_add_f32_e32 v8, v8, v15
	v_sub_f32_e32 v15, v14, v16
	v_sub_f32_e32 v13, v13, v15
	v_add_f32_e32 v8, v8, v13
	v_add_f32_e32 v13, v14, v8
	v_sub_f32_e32 v14, v13, v14
	v_mul_f32_e32 v15, v12, v13
	s_add_i32 s2, s30, -9
	v_sub_f32_e32 v8, v8, v14
	v_fma_f32 v13, v12, v13, -v15
	s_ashr_i32 s3, s2, 31
	v_fmac_f32_e32 v13, v12, v8
	v_cndmask_b32_e64 v11, 1.0, v0, s[4:5]
	s_lshl_b64 s[4:5], s[2:3], 2
	v_add_f32_e32 v8, v15, v13
	v_cmp_class_f32_e64 s[2:3], v15, s38
	v_sub_f32_e32 v12, v8, v15
	v_cndmask_b32_e64 v8, v8, v15, s[2:3]
	v_cmp_eq_f32_e64 s[2:3], s40, v8
	v_sub_f32_e32 v12, v13, v12
	v_cndmask_b32_e64 v13, 0, v4, s[2:3]
	v_sub_f32_e32 v14, v8, v13
	v_mul_f32_e32 v15, 0x3fb8aa3b, v14
	v_fma_f32 v16, v14, s41, -v15
	v_rndne_f32_e32 v17, v15
	v_fmac_f32_e32 v16, 0x32a5705f, v14
	v_sub_f32_e32 v15, v15, v17
	v_add_f32_e32 v15, v15, v16
	v_cvt_i32_f32_e32 v17, v17
	v_exp_f32_e32 v15, v15
	v_cmp_neq_f32_e64 s[2:3], |v8|, s39
	v_cndmask_b32_e64 v8, 0, v12, s[2:3]
	v_cmp_ngt_f32_e64 s[2:3], s42, v14
	v_ldexp_f32 v12, v15, v17
	v_cndmask_b32_e64 v12, 0, v12, s[2:3]
	v_cmp_nlt_f32_e64 s[2:3], s40, v14
	v_add_f32_e32 v8, v13, v8
	v_cndmask_b32_e64 v12, v5, v12, s[2:3]
	v_fma_f32 v8, v12, v8, v12
	v_cmp_class_f32_e64 s[2:3], v12, s38
	v_cndmask_b32_e64 v8, v8, v12, s[2:3]
	v_cmp_class_f32_e64 s[6:7], v0, s38
	v_bfi_b32 v8, s43, v8, v11
	v_cndmask_b32_e64 v11, v6, v8, s[0:1]
	v_cmp_gt_f32_e64 s[0:1], 0, v0
	s_or_b64 vcc, vcc, s[6:7]
	v_cndmask_b32_e64 v8, v8, v11, s[0:1]
	s_add_u32 s0, s12, s4
	s_addc_u32 s1, s13, s5
	v_cmp_o_f32_e64 s[2:3], v0, v0
	global_load_dword v11, v2, s[0:1]
	v_cndmask_b32_e32 v8, v8, v10, vcc
	v_mov_b32_e32 v12, 0x3e91f4c4
	v_cndmask_b32_e64 v8, v6, v8, s[2:3]
	s_ashr_i32 s31, s30, 31
	s_waitcnt vmcnt(0)
	v_add_f32_e32 v0, v1, v11
	v_frexp_mant_f32_e64 v1, |v0|
	v_cmp_eq_f32_e32 vcc, 1.0, v0
	v_cmp_gt_f32_e64 s[4:5], s36, v1
	v_cndmask_b32_e64 v13, 2.0, 1.0, vcc
	v_cvt_f64_f32_e64 v[10:11], |v0|
	v_cndmask_b32_e64 v15, 1.0, 2.0, s[4:5]
	v_mul_f32_e32 v17, 0.5, v13
	v_mul_f32_e32 v1, v1, v15
	v_trunc_f32_e32 v15, v17
	v_add_f32_e32 v18, 1.0, v1
	v_trunc_f32_e32 v16, v13
	v_cmp_neq_f32_e64 s[6:7], v15, v17
	v_rcp_f32_e32 v17, v18
	v_cmp_eq_f32_e64 s[0:1], v16, v13
	v_frexp_exp_i32_f64_e32 v10, v[10:11]
	v_cmp_eq_f32_e32 vcc, 0, v0
	v_add_f32_e32 v15, -1.0, v18
	s_and_b64 s[6:7], s[0:1], s[6:7]
	v_cndmask_b32_e64 v14, v5, 0, vcc
	v_add_f32_e32 v16, -1.0, v1
	v_sub_f32_e32 v15, v1, v15
	v_cndmask_b32_e64 v1, 0, v0, s[6:7]
	v_bfi_b32 v1, s43, v14, v1
	v_mul_f32_e32 v14, v16, v17
	v_mul_f32_e32 v19, v18, v14
	v_fma_f32 v18, v14, v18, -v19
	v_fmac_f32_e32 v18, v14, v15
	v_add_f32_e32 v15, v19, v18
	v_subbrev_co_u32_e64 v10, s[4:5], 0, v10, s[4:5]
	v_sub_f32_e32 v19, v15, v19
	v_sub_f32_e32 v18, v19, v18
	v_sub_f32_e32 v19, v16, v15
	v_cvt_f32_i32_e32 v10, v10
	v_sub_f32_e32 v16, v16, v19
	v_sub_f32_e32 v15, v16, v15
	v_add_f32_e32 v15, v18, v15
	v_add_f32_e32 v15, v19, v15
	v_mul_f32_e32 v16, 0x3f317218, v10
	v_mul_f32_e32 v15, v17, v15
	v_fma_f32 v17, v10, s37, -v16
	v_add_f32_e32 v18, v14, v15
	v_fmac_f32_e32 v17, 0xb102e308, v10
	v_sub_f32_e32 v10, v18, v14
	v_add_f32_e32 v19, v16, v17
	v_mul_f32_e32 v14, v18, v18
	v_sub_f32_e32 v10, v15, v10
	v_sub_f32_e32 v16, v19, v16
	v_fma_f32 v15, v18, v18, -v14
	v_sub_f32_e32 v16, v17, v16
	v_add_f32_e32 v17, v10, v10
	v_fmac_f32_e32 v15, v18, v17
	v_add_f32_e32 v17, v14, v15
	v_fmac_f32_e32 v12, 0x3e76c4e1, v17
	v_sub_f32_e32 v14, v17, v14
	v_sub_f32_e32 v14, v15, v14
	v_mul_f32_e32 v15, v18, v17
	v_fma_f32 v12, v17, v12, v3
	v_fma_f32 v20, v17, v18, -v15
	v_mul_f32_e32 v21, v17, v12
	v_fmac_f32_e32 v20, v17, v10
	v_fma_f32 v17, v17, v12, -v21
	v_fmac_f32_e32 v17, v14, v12
	v_add_f32_e32 v12, v21, v17
	v_fmac_f32_e32 v20, v14, v18
	v_sub_f32_e32 v14, v12, v21
	v_sub_f32_e32 v14, v17, v14
	v_add_f32_e32 v17, 0x3f2aaaaa, v12
	v_add_f32_e32 v21, 0xbf2aaaaa, v17
	v_sub_f32_e32 v12, v12, v21
	v_add_f32_e32 v14, 0x31739010, v14
	v_add_f32_e32 v12, v14, v12
	;; [unrolled: 1-line block ×3, first 2 shown]
	v_sub_f32_e32 v17, v17, v14
	v_add_f32_e32 v12, v12, v17
	v_add_f32_e32 v17, v15, v20
	v_mul_f32_e32 v21, v17, v14
	v_fma_f32 v22, v17, v14, -v21
	v_fmac_f32_e32 v22, v17, v12
	v_sub_f32_e32 v12, v17, v15
	v_sub_f32_e32 v12, v20, v12
	v_fmac_f32_e32 v22, v12, v14
	v_ldexp_f32 v15, v18, 1
	v_add_f32_e32 v12, v21, v22
	v_sub_f32_e32 v14, v12, v21
	v_add_f32_e32 v17, v15, v12
	v_ldexp_f32 v10, v10, 1
	v_sub_f32_e32 v14, v22, v14
	v_sub_f32_e32 v15, v17, v15
	;; [unrolled: 1-line block ×3, first 2 shown]
	v_add_f32_e32 v10, v10, v14
	v_add_f32_e32 v10, v10, v12
	;; [unrolled: 1-line block ×3, first 2 shown]
	v_sub_f32_e32 v14, v12, v17
	v_add_f32_e32 v15, v19, v12
	v_sub_f32_e32 v10, v10, v14
	v_sub_f32_e32 v14, v15, v19
	v_sub_f32_e32 v17, v15, v14
	v_sub_f32_e32 v12, v12, v14
	v_sub_f32_e32 v17, v19, v17
	v_add_f32_e32 v14, v16, v10
	v_add_f32_e32 v12, v12, v17
	v_sub_f32_e32 v18, v14, v16
	v_add_f32_e32 v12, v14, v12
	v_sub_f32_e32 v17, v14, v18
	;; [unrolled: 2-line block ×3, first 2 shown]
	v_sub_f32_e32 v16, v16, v17
	v_sub_f32_e32 v15, v14, v15
	v_add_f32_e32 v10, v10, v16
	v_sub_f32_e32 v12, v12, v15
	v_add_f32_e32 v10, v10, v12
	v_add_f32_e32 v12, v14, v10
	v_sub_f32_e32 v14, v12, v14
	v_mul_f32_e32 v15, v13, v12
	v_sub_f32_e32 v10, v10, v14
	v_fma_f32 v12, v13, v12, -v15
	v_fmac_f32_e32 v12, v13, v10
	v_add_f32_e32 v10, v15, v12
	v_cmp_class_f32_e64 s[2:3], v15, s38
	v_sub_f32_e32 v13, v10, v15
	v_cndmask_b32_e64 v10, v10, v15, s[2:3]
	v_cmp_eq_f32_e64 s[2:3], s40, v10
	v_sub_f32_e32 v12, v12, v13
	v_cndmask_b32_e64 v13, 0, v4, s[2:3]
	v_sub_f32_e32 v14, v10, v13
	v_mul_f32_e32 v15, 0x3fb8aa3b, v14
	v_fma_f32 v16, v14, s41, -v15
	v_rndne_f32_e32 v17, v15
	v_fmac_f32_e32 v16, 0x32a5705f, v14
	v_sub_f32_e32 v15, v15, v17
	v_add_f32_e32 v15, v15, v16
	v_cvt_i32_f32_e32 v17, v17
	v_exp_f32_e32 v15, v15
	v_cmp_neq_f32_e64 s[2:3], |v10|, s39
	v_cndmask_b32_e64 v10, 0, v12, s[2:3]
	v_cmp_ngt_f32_e64 s[2:3], s42, v14
	v_ldexp_f32 v12, v15, v17
	v_cndmask_b32_e64 v12, 0, v12, s[2:3]
	v_cmp_nlt_f32_e64 s[2:3], s40, v14
	v_add_f32_e32 v10, v13, v10
	v_cndmask_b32_e64 v12, v5, v12, s[2:3]
	v_fma_f32 v10, v12, v10, v12
	v_cmp_class_f32_e64 s[2:3], v12, s38
	v_cndmask_b32_e64 v11, 1.0, v0, s[6:7]
	v_cndmask_b32_e64 v10, v10, v12, s[2:3]
	v_bfi_b32 v10, s43, v10, v11
	v_cmp_class_f32_e64 s[4:5], v0, s38
	v_cndmask_b32_e64 v11, v6, v10, s[0:1]
	v_cmp_gt_f32_e64 s[0:1], 0, v0
	v_cndmask_b32_e64 v10, v10, v11, s[0:1]
	s_or_b64 vcc, vcc, s[4:5]
	v_cndmask_b32_e32 v1, v10, v1, vcc
	v_mul_f32_e32 v1, 0x3e800000, v1
	v_cmp_o_f32_e32 vcc, v0, v0
	v_cndmask_b32_e32 v0, v6, v1, vcc
	v_add_f32_e32 v0, v8, v0
	v_mul_f32_e32 v1, 0x4f800000, v0
	v_cmp_gt_f32_e32 vcc, s44, v0
	v_cndmask_b32_e32 v0, v0, v1, vcc
	v_sqrt_f32_e32 v1, v0
	v_add_u32_e32 v8, -1, v1
	v_add_u32_e32 v10, 1, v1
	v_fma_f32 v11, -v8, v1, v0
	v_fma_f32 v12, -v10, v1, v0
	v_cmp_ge_f32_e64 s[0:1], 0, v11
	v_cndmask_b32_e64 v1, v1, v8, s[0:1]
	v_cmp_lt_f32_e64 s[0:1], 0, v12
	v_cndmask_b32_e64 v1, v1, v10, s[0:1]
	v_mul_f32_e32 v8, 0x37800000, v1
	v_cndmask_b32_e32 v1, v1, v8, vcc
	v_cmp_class_f32_e32 vcc, v0, v7
	s_lshl_b64 s[0:1], s[30:31], 2
	v_cndmask_b32_e32 v0, v1, v0, vcc
	s_add_u32 s0, s12, s0
	v_mul_f32_e32 v0, v9, v0
	s_addc_u32 s1, s13, s1
	global_store_dword v2, v0, s[0:1]
	global_load_dword v1, v2, s[34:35] offset:12
	s_waitcnt vmcnt(0)
	v_cmp_nlt_f32_e32 vcc, 0, v1
	s_cbranch_vccnz .LBB1_5
; %bb.7:                                ;   in Loop: Header=BB1_6 Depth=1
	v_xor_b32_e32 v0, 0x80000000, v0
	global_store_dword v2, v0, s[0:1]
	s_branch .LBB1_5
.LBB1_8:
	s_add_i32 s20, s10, -1
	s_cmp_lt_i32 s23, s20
	s_cselect_b64 s[0:1], -1, 0
	s_xor_b64 s[2:3], s[8:9], -1
	s_or_b64 s[0:1], s[0:1], s[2:3]
	s_and_b64 vcc, exec, s[0:1]
	s_cbranch_vccnz .LBB1_11
; %bb.9:
	s_add_i32 s23, s11, -2
	s_add_u32 s16, s18, 8
	s_mul_i32 s0, s10, 24
	s_addc_u32 s17, s19, 0
	s_add_i32 s30, s0, -9
	v_mov_b32_e32 v0, 0
	s_mov_b32 s34, 0x3f2aaaab
	v_mov_b32_e32 v1, 0x3ecccdef
	s_mov_b32 s35, 0x3f317218
	s_movk_i32 s36, 0x204
	s_mov_b32 s37, 0x7f800000
	s_mov_b32 s38, 0x42b17218
	v_mov_b32_e32 v2, 0x37000000
	s_mov_b32 s39, 0x3fb8aa3b
	s_mov_b32 s40, 0xc2ce8ed0
	v_mov_b32_e32 v3, 0x7f800000
	s_brev_b32 s41, -2
	v_mov_b32_e32 v4, 0x7fc00000
	s_mov_b32 s42, 0xf800000
	v_mov_b32_e32 v5, 0x260
.LBB1_10:                               ; =>This Inner Loop Header: Depth=1
	s_add_i32 s0, s30, -11
	s_ashr_i32 s1, s0, 31
	s_lshl_b64 s[0:1], s[0:1], 2
	s_add_u32 s0, s12, s0
	s_addc_u32 s1, s13, s1
	global_load_dword v6, v0, s[0:1]
	global_load_dword v8, v0, s[16:17]
	v_mov_b32_e32 v7, 0x3e91f4c4
	s_ashr_i32 s31, s30, 31
	s_lshl_b64 s[6:7], s[30:31], 2
	s_waitcnt vmcnt(1)
	v_frexp_mant_f32_e64 v12, |v6|
	v_cmp_eq_f32_e32 vcc, 1.0, v6
	v_cmp_gt_f32_e64 s[2:3], s34, v12
	v_cndmask_b32_e64 v11, 2.0, 1.0, vcc
	v_cndmask_b32_e64 v14, 1.0, 2.0, s[2:3]
	v_cvt_f64_f32_e64 v[9:10], |v6|
	v_mul_f32_e32 v16, 0.5, v11
	v_mul_f32_e32 v12, v12, v14
	v_trunc_f32_e32 v14, v16
	v_add_f32_e32 v17, 1.0, v12
	v_trunc_f32_e32 v15, v11
	v_cmp_neq_f32_e64 s[4:5], v14, v16
	v_rcp_f32_e32 v16, v17
	v_cmp_eq_f32_e32 vcc, v15, v11
	v_cmp_eq_f32_e64 s[0:1], 0, v6
	v_frexp_exp_i32_f64_e32 v18, v[9:10]
	s_and_b64 s[4:5], vcc, s[4:5]
	v_cndmask_b32_e64 v13, v3, 0, s[0:1]
	v_add_f32_e32 v15, -1.0, v12
	v_cndmask_b32_e64 v9, 0, v6, s[4:5]
	v_add_f32_e32 v14, -1.0, v17
	v_bfi_b32 v9, s41, v13, v9
	v_mul_f32_e32 v13, v15, v16
	v_sub_f32_e32 v12, v12, v14
	v_mul_f32_e32 v14, v17, v13
	v_fma_f32 v17, v13, v17, -v14
	v_fmac_f32_e32 v17, v13, v12
	v_add_f32_e32 v12, v14, v17
	v_sub_f32_e32 v19, v15, v12
	v_subbrev_co_u32_e64 v18, s[2:3], 0, v18, s[2:3]
	v_sub_f32_e32 v14, v12, v14
	v_sub_f32_e32 v15, v15, v19
	v_cvt_f32_i32_e32 v18, v18
	v_sub_f32_e32 v14, v14, v17
	v_sub_f32_e32 v12, v15, v12
	v_add_f32_e32 v12, v14, v12
	v_add_f32_e32 v12, v19, v12
	v_mul_f32_e32 v12, v16, v12
	v_mul_f32_e32 v14, 0x3f317218, v18
	v_add_f32_e32 v16, v13, v12
	v_fma_f32 v15, v18, s35, -v14
	v_sub_f32_e32 v13, v16, v13
	v_fmac_f32_e32 v15, 0xb102e308, v18
	v_mul_f32_e32 v17, v16, v16
	v_sub_f32_e32 v12, v12, v13
	v_add_f32_e32 v18, v14, v15
	v_fma_f32 v13, v16, v16, -v17
	v_add_f32_e32 v19, v12, v12
	v_sub_f32_e32 v14, v18, v14
	v_fmac_f32_e32 v13, v16, v19
	v_sub_f32_e32 v14, v15, v14
	v_add_f32_e32 v15, v17, v13
	v_fmac_f32_e32 v7, 0x3e76c4e1, v15
	v_sub_f32_e32 v17, v15, v17
	v_mul_f32_e32 v19, v16, v15
	v_fma_f32 v7, v15, v7, v1
	v_sub_f32_e32 v13, v13, v17
	v_fma_f32 v17, v15, v16, -v19
	v_mul_f32_e32 v20, v15, v7
	v_fmac_f32_e32 v17, v15, v12
	v_fma_f32 v15, v15, v7, -v20
	v_fmac_f32_e32 v15, v13, v7
	v_add_f32_e32 v7, v20, v15
	v_fmac_f32_e32 v17, v13, v16
	v_sub_f32_e32 v13, v7, v20
	v_sub_f32_e32 v13, v15, v13
	v_add_f32_e32 v15, 0x3f2aaaaa, v7
	v_add_f32_e32 v20, 0xbf2aaaaa, v15
	v_sub_f32_e32 v7, v7, v20
	v_add_f32_e32 v13, 0x31739010, v13
	v_add_f32_e32 v7, v13, v7
	;; [unrolled: 1-line block ×3, first 2 shown]
	v_sub_f32_e32 v15, v15, v13
	v_add_f32_e32 v7, v7, v15
	v_add_f32_e32 v15, v19, v17
	v_mul_f32_e32 v20, v15, v13
	v_fma_f32 v21, v15, v13, -v20
	v_fmac_f32_e32 v21, v15, v7
	v_sub_f32_e32 v7, v15, v19
	v_sub_f32_e32 v15, v17, v7
	v_fmac_f32_e32 v21, v15, v13
	v_ldexp_f32 v16, v16, 1
	v_add_f32_e32 v13, v20, v21
	v_sub_f32_e32 v15, v13, v20
	v_add_f32_e32 v17, v16, v13
	v_ldexp_f32 v12, v12, 1
	v_sub_f32_e32 v15, v21, v15
	v_sub_f32_e32 v16, v17, v16
	;; [unrolled: 1-line block ×3, first 2 shown]
	v_add_f32_e32 v12, v12, v15
	v_add_f32_e32 v12, v12, v13
	;; [unrolled: 1-line block ×3, first 2 shown]
	v_sub_f32_e32 v15, v13, v17
	v_add_f32_e32 v16, v18, v13
	v_sub_f32_e32 v12, v12, v15
	v_sub_f32_e32 v15, v16, v18
	;; [unrolled: 1-line block ×4, first 2 shown]
	v_add_f32_e32 v15, v14, v12
	v_sub_f32_e32 v17, v18, v17
	v_sub_f32_e32 v18, v15, v14
	v_add_f32_e32 v13, v13, v17
	v_sub_f32_e32 v17, v15, v18
	v_sub_f32_e32 v12, v12, v18
	;; [unrolled: 1-line block ×3, first 2 shown]
	v_add_f32_e32 v13, v15, v13
	v_add_f32_e32 v12, v12, v14
	;; [unrolled: 1-line block ×3, first 2 shown]
	v_sub_f32_e32 v15, v14, v16
	v_sub_f32_e32 v13, v13, v15
	v_add_f32_e32 v12, v12, v13
	v_add_f32_e32 v13, v14, v12
	v_sub_f32_e32 v14, v13, v14
	v_mul_f32_e32 v15, v11, v13
	v_sub_f32_e32 v12, v12, v14
	v_fma_f32 v13, v11, v13, -v15
	v_fmac_f32_e32 v13, v11, v12
	v_add_f32_e32 v11, v15, v13
	v_cmp_class_f32_e64 s[2:3], v15, s36
	v_sub_f32_e32 v12, v11, v15
	v_cndmask_b32_e64 v11, v11, v15, s[2:3]
	v_cmp_eq_f32_e64 s[2:3], s38, v11
	v_sub_f32_e32 v12, v13, v12
	v_cndmask_b32_e64 v13, 0, v2, s[2:3]
	v_cmp_neq_f32_e64 s[2:3], |v11|, s37
	v_cndmask_b32_e64 v12, 0, v12, s[2:3]
	v_sub_f32_e32 v11, v11, v13
	v_add_f32_e32 v12, v13, v12
	v_mul_f32_e32 v13, 0x3fb8aa3b, v11
	v_fma_f32 v14, v11, s39, -v13
	v_rndne_f32_e32 v15, v13
	v_fmac_f32_e32 v14, 0x32a5705f, v11
	v_sub_f32_e32 v13, v13, v15
	v_add_f32_e32 v13, v13, v14
	v_cvt_i32_f32_e32 v15, v15
	v_exp_f32_e32 v13, v13
	v_cmp_ngt_f32_e64 s[2:3], s40, v11
	v_cndmask_b32_e64 v10, 1.0, v6, s[4:5]
	v_cmp_class_f32_e64 s[4:5], v6, s36
	v_ldexp_f32 v13, v13, v15
	v_cndmask_b32_e64 v13, 0, v13, s[2:3]
	v_cmp_nlt_f32_e64 s[2:3], s38, v11
	v_cndmask_b32_e64 v11, v3, v13, s[2:3]
	v_fma_f32 v12, v11, v12, v11
	v_cmp_class_f32_e64 s[2:3], v11, s36
	v_cndmask_b32_e64 v11, v12, v11, s[2:3]
	v_bfi_b32 v10, s41, v11, v10
	v_cndmask_b32_e32 v11, v4, v10, vcc
	v_cmp_gt_f32_e32 vcc, 0, v6
	v_cndmask_b32_e32 v10, v10, v11, vcc
	s_or_b64 s[0:1], s[0:1], s[4:5]
	v_cndmask_b32_e64 v11, v10, v9, s[0:1]
	s_add_u32 s0, s12, s6
	s_addc_u32 s1, s13, s7
	s_add_i32 s2, s30, -12
	s_ashr_i32 s3, s2, 31
	v_cmp_o_f32_e64 s[4:5], v6, v6
	global_load_dword v6, v0, s[0:1]
	s_lshl_b64 s[0:1], s[2:3], 2
	s_add_u32 s0, s12, s0
	s_addc_u32 s1, s13, s1
	global_load_dword v9, v0, s[0:1]
	v_mov_b32_e32 v7, 0x3e91f4c4
	v_cndmask_b32_e64 v11, v4, v11, s[4:5]
	s_add_i32 s4, s30, -2
	s_ashr_i32 s5, s4, 31
	s_waitcnt vmcnt(0)
	v_add_f32_e32 v6, v6, v9
	v_frexp_mant_f32_e64 v13, |v6|
	v_cmp_eq_f32_e64 s[0:1], 1.0, v6
	v_cmp_gt_f32_e64 s[6:7], s34, v13
	v_cndmask_b32_e64 v12, 2.0, 1.0, s[0:1]
	v_cvt_f64_f32_e64 v[9:10], |v6|
	v_cndmask_b32_e64 v15, 1.0, 2.0, s[6:7]
	v_mul_f32_e32 v17, 0.5, v12
	v_mul_f32_e32 v13, v13, v15
	v_trunc_f32_e32 v15, v17
	v_add_f32_e32 v18, 1.0, v13
	v_trunc_f32_e32 v16, v12
	v_cmp_neq_f32_e64 s[8:9], v15, v17
	v_rcp_f32_e32 v17, v18
	v_cmp_eq_f32_e64 s[2:3], v16, v12
	v_frexp_exp_i32_f64_e32 v19, v[9:10]
	v_cmp_eq_f32_e64 s[0:1], 0, v6
	s_and_b64 s[8:9], s[2:3], s[8:9]
	v_cndmask_b32_e64 v14, v3, 0, s[0:1]
	v_add_f32_e32 v16, -1.0, v13
	v_cndmask_b32_e64 v9, 0, v6, s[8:9]
	v_add_f32_e32 v15, -1.0, v18
	v_bfi_b32 v9, s41, v14, v9
	v_mul_f32_e32 v14, v16, v17
	v_sub_f32_e32 v13, v13, v15
	v_mul_f32_e32 v15, v18, v14
	v_fma_f32 v18, v14, v18, -v15
	v_fmac_f32_e32 v18, v14, v13
	v_add_f32_e32 v13, v15, v18
	v_subbrev_co_u32_e64 v19, s[6:7], 0, v19, s[6:7]
	v_sub_f32_e32 v15, v13, v15
	v_sub_f32_e32 v15, v15, v18
	;; [unrolled: 1-line block ×3, first 2 shown]
	v_cvt_f32_i32_e32 v19, v19
	v_sub_f32_e32 v16, v16, v18
	v_sub_f32_e32 v13, v16, v13
	v_add_f32_e32 v13, v15, v13
	v_add_f32_e32 v13, v18, v13
	v_mul_f32_e32 v15, 0x3f317218, v19
	v_mul_f32_e32 v13, v17, v13
	v_fma_f32 v16, v19, s35, -v15
	v_add_f32_e32 v17, v14, v13
	v_fmac_f32_e32 v16, 0xb102e308, v19
	v_sub_f32_e32 v14, v17, v14
	v_add_f32_e32 v19, v15, v16
	v_mul_f32_e32 v18, v17, v17
	v_sub_f32_e32 v13, v13, v14
	v_sub_f32_e32 v15, v19, v15
	v_fma_f32 v14, v17, v17, -v18
	v_sub_f32_e32 v15, v16, v15
	v_add_f32_e32 v16, v13, v13
	v_fmac_f32_e32 v14, v17, v16
	v_add_f32_e32 v16, v18, v14
	v_fmac_f32_e32 v7, 0x3e76c4e1, v16
	v_sub_f32_e32 v18, v16, v18
	v_sub_f32_e32 v14, v14, v18
	v_mul_f32_e32 v18, v17, v16
	v_fma_f32 v7, v16, v7, v1
	v_fma_f32 v20, v16, v17, -v18
	v_mul_f32_e32 v21, v16, v7
	v_fmac_f32_e32 v20, v16, v13
	v_fma_f32 v16, v16, v7, -v21
	v_fmac_f32_e32 v16, v14, v7
	v_add_f32_e32 v7, v21, v16
	v_fmac_f32_e32 v20, v14, v17
	v_sub_f32_e32 v14, v7, v21
	v_sub_f32_e32 v14, v16, v14
	v_add_f32_e32 v16, 0x3f2aaaaa, v7
	v_add_f32_e32 v21, 0xbf2aaaaa, v16
	v_sub_f32_e32 v7, v7, v21
	v_add_f32_e32 v14, 0x31739010, v14
	v_add_f32_e32 v7, v14, v7
	;; [unrolled: 1-line block ×3, first 2 shown]
	v_sub_f32_e32 v16, v16, v14
	v_add_f32_e32 v7, v7, v16
	v_add_f32_e32 v16, v18, v20
	v_mul_f32_e32 v21, v16, v14
	v_fma_f32 v22, v16, v14, -v21
	v_fmac_f32_e32 v22, v16, v7
	v_sub_f32_e32 v7, v16, v18
	v_sub_f32_e32 v7, v20, v7
	v_fmac_f32_e32 v22, v7, v14
	v_ldexp_f32 v16, v17, 1
	v_add_f32_e32 v7, v21, v22
	v_sub_f32_e32 v14, v7, v21
	v_add_f32_e32 v17, v16, v7
	v_ldexp_f32 v13, v13, 1
	v_sub_f32_e32 v14, v22, v14
	v_sub_f32_e32 v16, v17, v16
	;; [unrolled: 1-line block ×3, first 2 shown]
	v_add_f32_e32 v13, v13, v14
	v_add_f32_e32 v7, v13, v7
	v_add_f32_e32 v13, v17, v7
	v_sub_f32_e32 v14, v13, v17
	v_add_f32_e32 v16, v19, v13
	v_sub_f32_e32 v7, v7, v14
	v_sub_f32_e32 v14, v16, v19
	;; [unrolled: 1-line block ×4, first 2 shown]
	v_add_f32_e32 v14, v15, v7
	v_sub_f32_e32 v17, v19, v17
	v_sub_f32_e32 v18, v14, v15
	v_add_f32_e32 v13, v13, v17
	v_sub_f32_e32 v17, v14, v18
	v_add_f32_e32 v13, v14, v13
	v_sub_f32_e32 v7, v7, v18
	v_sub_f32_e32 v15, v15, v17
	v_add_f32_e32 v14, v16, v13
	v_add_f32_e32 v7, v7, v15
	v_sub_f32_e32 v15, v14, v16
	v_sub_f32_e32 v13, v13, v15
	v_add_f32_e32 v7, v7, v13
	v_add_f32_e32 v13, v14, v7
	v_sub_f32_e32 v14, v13, v14
	v_mul_f32_e32 v15, v12, v13
	v_sub_f32_e32 v7, v7, v14
	v_fma_f32 v13, v12, v13, -v15
	v_fmac_f32_e32 v13, v12, v7
	s_lshl_b64 s[6:7], s[4:5], 2
	v_add_f32_e32 v7, v15, v13
	v_cmp_class_f32_e64 s[4:5], v15, s36
	v_sub_f32_e32 v12, v7, v15
	v_cndmask_b32_e64 v7, v7, v15, s[4:5]
	v_cmp_eq_f32_e64 s[4:5], s38, v7
	v_sub_f32_e32 v12, v13, v12
	v_cndmask_b32_e64 v13, 0, v2, s[4:5]
	v_cmp_neq_f32_e64 s[4:5], |v7|, s37
	v_cndmask_b32_e64 v12, 0, v12, s[4:5]
	v_sub_f32_e32 v7, v7, v13
	v_add_f32_e32 v12, v13, v12
	v_mul_f32_e32 v13, 0x3fb8aa3b, v7
	v_fma_f32 v14, v7, s39, -v13
	v_rndne_f32_e32 v15, v13
	v_fmac_f32_e32 v14, 0x32a5705f, v7
	v_sub_f32_e32 v13, v13, v15
	v_add_f32_e32 v13, v13, v14
	v_cvt_i32_f32_e32 v15, v15
	v_exp_f32_e32 v13, v13
	v_cmp_ngt_f32_e64 s[4:5], s40, v7
	v_cndmask_b32_e64 v10, 1.0, v6, s[8:9]
	v_cmp_class_f32_e64 s[8:9], v6, s36
	v_ldexp_f32 v13, v13, v15
	v_cndmask_b32_e64 v13, 0, v13, s[4:5]
	v_cmp_nlt_f32_e64 s[4:5], s38, v7
	v_cndmask_b32_e64 v7, v3, v13, s[4:5]
	v_fma_f32 v12, v7, v12, v7
	v_cmp_class_f32_e64 s[4:5], v7, s36
	v_cndmask_b32_e64 v7, v12, v7, s[4:5]
	v_bfi_b32 v7, s41, v7, v10
	v_cndmask_b32_e64 v10, v4, v7, s[2:3]
	v_cmp_gt_f32_e64 s[2:3], 0, v6
	v_cndmask_b32_e64 v7, v7, v10, s[2:3]
	s_or_b64 s[0:1], s[0:1], s[8:9]
	v_cndmask_b32_e64 v7, v7, v9, s[0:1]
	v_mul_f32_e32 v7, 0x3e800000, v7
	v_cmp_o_f32_e64 s[0:1], v6, v6
	v_cndmask_b32_e64 v6, v4, v7, s[0:1]
	v_add_f32_e32 v6, v11, v6
	v_mul_f32_e32 v7, 0x4f800000, v6
	v_cmp_gt_f32_e64 s[0:1], s42, v6
	v_cndmask_b32_e64 v6, v6, v7, s[0:1]
	v_sqrt_f32_e32 v7, v6
	s_add_u32 s4, s12, s6
	s_addc_u32 s5, s13, s7
	s_add_i32 s23, s23, -1
	v_add_u32_e32 v9, -1, v7
	v_add_u32_e32 v10, 1, v7
	v_fma_f32 v11, -v9, v7, v6
	v_fma_f32 v12, -v10, v7, v6
	v_cmp_ge_f32_e64 s[2:3], 0, v11
	v_cndmask_b32_e64 v7, v7, v9, s[2:3]
	v_cmp_lt_f32_e64 s[2:3], 0, v12
	v_cndmask_b32_e64 v7, v7, v10, s[2:3]
	v_mul_f32_e32 v9, 0x37800000, v7
	v_cndmask_b32_e64 v7, v7, v9, s[0:1]
	v_cmp_class_f32_e64 s[0:1], v6, v5
	s_add_u32 s16, s16, 4
	v_cndmask_b32_e64 v6, v7, v6, s[0:1]
	s_addc_u32 s17, s17, 0
	s_add_i32 s30, s30, s33
	v_mul_f32_e32 v6, v8, v6
	s_cmp_lg_u32 s23, 0
	v_cndmask_b32_e64 v6, v6, -v6, vcc
	global_store_dword v0, v6, s[4:5]
	s_cbranch_scc1 .LBB1_10
.LBB1_11:
	s_add_i32 s30, s11, -1
	s_cmp_lt_i32 s22, s30
	s_cselect_b64 s[0:1], -1, 0
	s_xor_b64 s[2:3], s[28:29], -1
	s_or_b64 s[0:1], s[0:1], s[2:3]
	s_and_b64 vcc, exec, s[0:1]
	s_cbranch_vccnz .LBB1_14
; %bb.12:
	s_mul_i32 s0, s10, s30
	s_mul_i32 s0, s0, 12
	s_add_i32 s16, s0, 12
	s_add_i32 s0, s11, -2
	s_mul_i32 s0, s10, s0
	s_mul_i32 s0, s0, 12
	s_add_i32 s31, s10, -2
	s_add_i32 s22, s0, 12
	s_add_u32 s26, s26, 8
	s_addc_u32 s27, s27, 0
	v_mov_b32_e32 v0, 0
	s_mov_b32 s34, 0x3f2aaaab
	v_mov_b32_e32 v1, 0x3ecccdef
	s_mov_b32 s35, 0x3f317218
	s_movk_i32 s36, 0x204
	s_mov_b32 s37, 0x7f800000
	s_mov_b32 s38, 0x42b17218
	v_mov_b32_e32 v2, 0x37000000
	s_mov_b32 s39, 0x3fb8aa3b
	s_mov_b32 s40, 0xc2ce8ed0
	v_mov_b32_e32 v3, 0x7f800000
	s_brev_b32 s41, -2
	v_mov_b32_e32 v4, 0x7fc00000
	s_mov_b32 s42, 0xf800000
	v_mov_b32_e32 v5, 0x260
.LBB1_13:                               ; =>This Inner Loop Header: Depth=1
	s_ashr_i32 s23, s22, 31
	s_lshl_b64 s[0:1], s[22:23], 2
	s_add_u32 s0, s12, s0
	s_addc_u32 s1, s13, s1
	global_load_dword v6, v0, s[0:1] offset:12
	global_load_dword v8, v0, s[26:27]
	v_mov_b32_e32 v7, 0x3e91f4c4
	s_ashr_i32 s17, s16, 31
	s_lshl_b64 s[6:7], s[16:17], 2
	s_waitcnt vmcnt(1)
	v_frexp_mant_f32_e64 v12, |v6|
	v_cmp_eq_f32_e32 vcc, 1.0, v6
	v_cmp_gt_f32_e64 s[2:3], s34, v12
	v_cndmask_b32_e64 v11, 2.0, 1.0, vcc
	v_cndmask_b32_e64 v14, 1.0, 2.0, s[2:3]
	v_cvt_f64_f32_e64 v[9:10], |v6|
	v_mul_f32_e32 v16, 0.5, v11
	v_mul_f32_e32 v12, v12, v14
	v_trunc_f32_e32 v14, v16
	v_add_f32_e32 v17, 1.0, v12
	v_trunc_f32_e32 v15, v11
	v_cmp_neq_f32_e64 s[4:5], v14, v16
	v_rcp_f32_e32 v16, v17
	v_cmp_eq_f32_e32 vcc, v15, v11
	v_cmp_eq_f32_e64 s[0:1], 0, v6
	v_frexp_exp_i32_f64_e32 v18, v[9:10]
	s_and_b64 s[4:5], vcc, s[4:5]
	v_cndmask_b32_e64 v13, v3, 0, s[0:1]
	v_add_f32_e32 v15, -1.0, v12
	v_cndmask_b32_e64 v9, 0, v6, s[4:5]
	v_add_f32_e32 v14, -1.0, v17
	v_bfi_b32 v9, s41, v13, v9
	v_mul_f32_e32 v13, v15, v16
	v_sub_f32_e32 v12, v12, v14
	v_mul_f32_e32 v14, v17, v13
	v_fma_f32 v17, v13, v17, -v14
	v_fmac_f32_e32 v17, v13, v12
	v_add_f32_e32 v12, v14, v17
	v_sub_f32_e32 v19, v15, v12
	v_subbrev_co_u32_e64 v18, s[2:3], 0, v18, s[2:3]
	v_sub_f32_e32 v14, v12, v14
	v_sub_f32_e32 v15, v15, v19
	v_cvt_f32_i32_e32 v18, v18
	v_sub_f32_e32 v14, v14, v17
	v_sub_f32_e32 v12, v15, v12
	v_add_f32_e32 v12, v14, v12
	v_add_f32_e32 v12, v19, v12
	v_mul_f32_e32 v12, v16, v12
	v_mul_f32_e32 v14, 0x3f317218, v18
	v_add_f32_e32 v16, v13, v12
	v_fma_f32 v15, v18, s35, -v14
	v_sub_f32_e32 v13, v16, v13
	v_fmac_f32_e32 v15, 0xb102e308, v18
	v_mul_f32_e32 v17, v16, v16
	v_sub_f32_e32 v12, v12, v13
	v_add_f32_e32 v18, v14, v15
	v_fma_f32 v13, v16, v16, -v17
	v_add_f32_e32 v19, v12, v12
	v_sub_f32_e32 v14, v18, v14
	v_fmac_f32_e32 v13, v16, v19
	v_sub_f32_e32 v14, v15, v14
	v_add_f32_e32 v15, v17, v13
	v_fmac_f32_e32 v7, 0x3e76c4e1, v15
	v_sub_f32_e32 v17, v15, v17
	v_mul_f32_e32 v19, v16, v15
	v_fma_f32 v7, v15, v7, v1
	v_sub_f32_e32 v13, v13, v17
	v_fma_f32 v17, v15, v16, -v19
	v_mul_f32_e32 v20, v15, v7
	v_fmac_f32_e32 v17, v15, v12
	v_fma_f32 v15, v15, v7, -v20
	v_fmac_f32_e32 v15, v13, v7
	v_add_f32_e32 v7, v20, v15
	v_fmac_f32_e32 v17, v13, v16
	v_sub_f32_e32 v13, v7, v20
	v_sub_f32_e32 v13, v15, v13
	v_add_f32_e32 v15, 0x3f2aaaaa, v7
	v_add_f32_e32 v20, 0xbf2aaaaa, v15
	v_sub_f32_e32 v7, v7, v20
	v_add_f32_e32 v13, 0x31739010, v13
	v_add_f32_e32 v7, v13, v7
	;; [unrolled: 1-line block ×3, first 2 shown]
	v_sub_f32_e32 v15, v15, v13
	v_add_f32_e32 v7, v7, v15
	v_add_f32_e32 v15, v19, v17
	v_mul_f32_e32 v20, v15, v13
	v_fma_f32 v21, v15, v13, -v20
	v_fmac_f32_e32 v21, v15, v7
	v_sub_f32_e32 v7, v15, v19
	v_sub_f32_e32 v15, v17, v7
	v_fmac_f32_e32 v21, v15, v13
	v_ldexp_f32 v16, v16, 1
	v_add_f32_e32 v13, v20, v21
	v_sub_f32_e32 v15, v13, v20
	v_add_f32_e32 v17, v16, v13
	v_ldexp_f32 v12, v12, 1
	v_sub_f32_e32 v15, v21, v15
	v_sub_f32_e32 v16, v17, v16
	;; [unrolled: 1-line block ×3, first 2 shown]
	v_add_f32_e32 v12, v12, v15
	v_add_f32_e32 v12, v12, v13
	;; [unrolled: 1-line block ×3, first 2 shown]
	v_sub_f32_e32 v15, v13, v17
	v_add_f32_e32 v16, v18, v13
	v_sub_f32_e32 v12, v12, v15
	v_sub_f32_e32 v15, v16, v18
	;; [unrolled: 1-line block ×4, first 2 shown]
	v_add_f32_e32 v15, v14, v12
	v_sub_f32_e32 v17, v18, v17
	v_sub_f32_e32 v18, v15, v14
	v_add_f32_e32 v13, v13, v17
	v_sub_f32_e32 v17, v15, v18
	v_sub_f32_e32 v12, v12, v18
	;; [unrolled: 1-line block ×3, first 2 shown]
	v_add_f32_e32 v13, v15, v13
	v_add_f32_e32 v12, v12, v14
	;; [unrolled: 1-line block ×3, first 2 shown]
	v_sub_f32_e32 v15, v14, v16
	v_sub_f32_e32 v13, v13, v15
	v_add_f32_e32 v12, v12, v13
	v_add_f32_e32 v13, v14, v12
	v_sub_f32_e32 v14, v13, v14
	v_mul_f32_e32 v15, v11, v13
	v_sub_f32_e32 v12, v12, v14
	v_fma_f32 v13, v11, v13, -v15
	v_fmac_f32_e32 v13, v11, v12
	v_add_f32_e32 v11, v15, v13
	v_cmp_class_f32_e64 s[2:3], v15, s36
	v_sub_f32_e32 v12, v11, v15
	v_cndmask_b32_e64 v11, v11, v15, s[2:3]
	v_cmp_eq_f32_e64 s[2:3], s38, v11
	v_sub_f32_e32 v12, v13, v12
	v_cndmask_b32_e64 v13, 0, v2, s[2:3]
	v_cmp_neq_f32_e64 s[2:3], |v11|, s37
	v_cndmask_b32_e64 v12, 0, v12, s[2:3]
	v_sub_f32_e32 v11, v11, v13
	v_add_f32_e32 v12, v13, v12
	v_mul_f32_e32 v13, 0x3fb8aa3b, v11
	v_fma_f32 v14, v11, s39, -v13
	v_rndne_f32_e32 v15, v13
	v_fmac_f32_e32 v14, 0x32a5705f, v11
	v_sub_f32_e32 v13, v13, v15
	v_add_f32_e32 v13, v13, v14
	v_cvt_i32_f32_e32 v15, v15
	v_exp_f32_e32 v13, v13
	v_cmp_ngt_f32_e64 s[2:3], s40, v11
	v_cndmask_b32_e64 v10, 1.0, v6, s[4:5]
	v_cmp_class_f32_e64 s[4:5], v6, s36
	v_ldexp_f32 v13, v13, v15
	v_cndmask_b32_e64 v13, 0, v13, s[2:3]
	v_cmp_nlt_f32_e64 s[2:3], s38, v11
	v_cndmask_b32_e64 v11, v3, v13, s[2:3]
	v_fma_f32 v12, v11, v12, v11
	v_cmp_class_f32_e64 s[2:3], v11, s36
	v_cndmask_b32_e64 v11, v12, v11, s[2:3]
	v_bfi_b32 v10, s41, v11, v10
	v_cndmask_b32_e32 v11, v4, v10, vcc
	v_cmp_gt_f32_e32 vcc, 0, v6
	s_or_b64 s[0:1], s[0:1], s[4:5]
	v_cndmask_b32_e32 v10, v10, v11, vcc
	s_add_u32 s28, s12, s6
	v_cndmask_b32_e64 v11, v10, v9, s[0:1]
	s_addc_u32 s29, s13, s7
	s_add_i32 s0, s16, -8
	s_ashr_i32 s1, s0, 31
	s_lshl_b64 s[0:1], s[0:1], 2
	s_add_u32 s0, s12, s0
	s_addc_u32 s1, s13, s1
	v_cmp_o_f32_e64 s[4:5], v6, v6
	global_load_dword v6, v0, s[28:29] offset:16
	global_load_dword v9, v0, s[0:1]
	v_mov_b32_e32 v7, 0x3e91f4c4
	v_cndmask_b32_e64 v11, v4, v11, s[4:5]
	s_add_i32 s31, s31, -1
	s_add_i32 s16, s16, 12
	s_add_i32 s22, s22, 12
	s_waitcnt vmcnt(0)
	v_add_f32_e32 v6, v6, v9
	v_frexp_mant_f32_e64 v13, |v6|
	v_cmp_eq_f32_e64 s[0:1], 1.0, v6
	v_cmp_gt_f32_e64 s[6:7], s34, v13
	v_cndmask_b32_e64 v12, 2.0, 1.0, s[0:1]
	v_cvt_f64_f32_e64 v[9:10], |v6|
	v_cndmask_b32_e64 v15, 1.0, 2.0, s[6:7]
	v_mul_f32_e32 v17, 0.5, v12
	v_mul_f32_e32 v13, v13, v15
	v_trunc_f32_e32 v15, v17
	v_add_f32_e32 v18, 1.0, v13
	v_trunc_f32_e32 v16, v12
	v_cmp_neq_f32_e64 s[8:9], v15, v17
	v_rcp_f32_e32 v17, v18
	v_cmp_eq_f32_e64 s[2:3], v16, v12
	v_frexp_exp_i32_f64_e32 v19, v[9:10]
	v_cmp_eq_f32_e64 s[0:1], 0, v6
	s_and_b64 s[8:9], s[2:3], s[8:9]
	v_cndmask_b32_e64 v14, v3, 0, s[0:1]
	v_add_f32_e32 v16, -1.0, v13
	v_cndmask_b32_e64 v9, 0, v6, s[8:9]
	v_add_f32_e32 v15, -1.0, v18
	v_bfi_b32 v9, s41, v14, v9
	v_mul_f32_e32 v14, v16, v17
	v_sub_f32_e32 v13, v13, v15
	v_mul_f32_e32 v15, v18, v14
	v_fma_f32 v18, v14, v18, -v15
	v_fmac_f32_e32 v18, v14, v13
	v_add_f32_e32 v13, v15, v18
	v_subbrev_co_u32_e64 v19, s[6:7], 0, v19, s[6:7]
	v_sub_f32_e32 v15, v13, v15
	v_sub_f32_e32 v15, v15, v18
	;; [unrolled: 1-line block ×3, first 2 shown]
	v_cvt_f32_i32_e32 v19, v19
	v_sub_f32_e32 v16, v16, v18
	v_sub_f32_e32 v13, v16, v13
	v_add_f32_e32 v13, v15, v13
	v_add_f32_e32 v13, v18, v13
	v_mul_f32_e32 v15, 0x3f317218, v19
	v_mul_f32_e32 v13, v17, v13
	v_fma_f32 v16, v19, s35, -v15
	v_add_f32_e32 v17, v14, v13
	v_fmac_f32_e32 v16, 0xb102e308, v19
	v_sub_f32_e32 v14, v17, v14
	v_add_f32_e32 v19, v15, v16
	v_mul_f32_e32 v18, v17, v17
	v_sub_f32_e32 v13, v13, v14
	v_sub_f32_e32 v15, v19, v15
	v_fma_f32 v14, v17, v17, -v18
	v_sub_f32_e32 v15, v16, v15
	v_add_f32_e32 v16, v13, v13
	v_fmac_f32_e32 v14, v17, v16
	v_add_f32_e32 v16, v18, v14
	v_fmac_f32_e32 v7, 0x3e76c4e1, v16
	v_sub_f32_e32 v18, v16, v18
	v_sub_f32_e32 v14, v14, v18
	v_mul_f32_e32 v18, v17, v16
	v_fma_f32 v7, v16, v7, v1
	v_fma_f32 v20, v16, v17, -v18
	v_mul_f32_e32 v21, v16, v7
	v_fmac_f32_e32 v20, v16, v13
	v_fma_f32 v16, v16, v7, -v21
	v_fmac_f32_e32 v16, v14, v7
	v_add_f32_e32 v7, v21, v16
	v_fmac_f32_e32 v20, v14, v17
	v_sub_f32_e32 v14, v7, v21
	v_sub_f32_e32 v14, v16, v14
	v_add_f32_e32 v16, 0x3f2aaaaa, v7
	v_add_f32_e32 v21, 0xbf2aaaaa, v16
	v_sub_f32_e32 v7, v7, v21
	v_add_f32_e32 v14, 0x31739010, v14
	v_add_f32_e32 v7, v14, v7
	;; [unrolled: 1-line block ×3, first 2 shown]
	v_sub_f32_e32 v16, v16, v14
	v_add_f32_e32 v7, v7, v16
	v_add_f32_e32 v16, v18, v20
	v_mul_f32_e32 v21, v16, v14
	v_fma_f32 v22, v16, v14, -v21
	v_fmac_f32_e32 v22, v16, v7
	v_sub_f32_e32 v7, v16, v18
	v_sub_f32_e32 v7, v20, v7
	v_fmac_f32_e32 v22, v7, v14
	v_ldexp_f32 v16, v17, 1
	v_add_f32_e32 v7, v21, v22
	v_sub_f32_e32 v14, v7, v21
	v_add_f32_e32 v17, v16, v7
	v_ldexp_f32 v13, v13, 1
	v_sub_f32_e32 v14, v22, v14
	v_sub_f32_e32 v16, v17, v16
	;; [unrolled: 1-line block ×3, first 2 shown]
	v_add_f32_e32 v13, v13, v14
	v_add_f32_e32 v7, v13, v7
	;; [unrolled: 1-line block ×3, first 2 shown]
	v_sub_f32_e32 v14, v13, v17
	v_add_f32_e32 v16, v19, v13
	v_sub_f32_e32 v7, v7, v14
	v_sub_f32_e32 v14, v16, v19
	;; [unrolled: 1-line block ×4, first 2 shown]
	v_add_f32_e32 v14, v15, v7
	v_sub_f32_e32 v17, v19, v17
	v_sub_f32_e32 v18, v14, v15
	v_add_f32_e32 v13, v13, v17
	v_sub_f32_e32 v17, v14, v18
	v_add_f32_e32 v13, v14, v13
	v_sub_f32_e32 v7, v7, v18
	v_sub_f32_e32 v15, v15, v17
	v_add_f32_e32 v14, v16, v13
	v_add_f32_e32 v7, v7, v15
	v_sub_f32_e32 v15, v14, v16
	v_sub_f32_e32 v13, v13, v15
	v_add_f32_e32 v7, v7, v13
	v_add_f32_e32 v13, v14, v7
	v_sub_f32_e32 v14, v13, v14
	v_mul_f32_e32 v15, v12, v13
	v_sub_f32_e32 v7, v7, v14
	v_fma_f32 v13, v12, v13, -v15
	v_fmac_f32_e32 v13, v12, v7
	v_add_f32_e32 v7, v15, v13
	v_cmp_class_f32_e64 s[4:5], v15, s36
	v_sub_f32_e32 v12, v7, v15
	v_cndmask_b32_e64 v7, v7, v15, s[4:5]
	v_cmp_eq_f32_e64 s[4:5], s38, v7
	v_sub_f32_e32 v12, v13, v12
	v_cndmask_b32_e64 v13, 0, v2, s[4:5]
	v_cmp_neq_f32_e64 s[4:5], |v7|, s37
	v_cndmask_b32_e64 v12, 0, v12, s[4:5]
	v_sub_f32_e32 v7, v7, v13
	v_add_f32_e32 v12, v13, v12
	v_mul_f32_e32 v13, 0x3fb8aa3b, v7
	v_fma_f32 v14, v7, s39, -v13
	v_rndne_f32_e32 v15, v13
	v_fmac_f32_e32 v14, 0x32a5705f, v7
	v_sub_f32_e32 v13, v13, v15
	v_add_f32_e32 v13, v13, v14
	v_cvt_i32_f32_e32 v15, v15
	v_exp_f32_e32 v13, v13
	v_cmp_ngt_f32_e64 s[4:5], s40, v7
	v_cndmask_b32_e64 v10, 1.0, v6, s[8:9]
	v_cmp_class_f32_e64 s[6:7], v6, s36
	v_ldexp_f32 v13, v13, v15
	v_cndmask_b32_e64 v13, 0, v13, s[4:5]
	v_cmp_nlt_f32_e64 s[4:5], s38, v7
	v_cndmask_b32_e64 v7, v3, v13, s[4:5]
	v_fma_f32 v12, v7, v12, v7
	v_cmp_class_f32_e64 s[4:5], v7, s36
	v_cndmask_b32_e64 v7, v12, v7, s[4:5]
	v_bfi_b32 v7, s41, v7, v10
	v_cndmask_b32_e64 v10, v4, v7, s[2:3]
	v_cmp_gt_f32_e64 s[2:3], 0, v6
	v_cndmask_b32_e64 v7, v7, v10, s[2:3]
	s_or_b64 s[0:1], s[0:1], s[6:7]
	v_cndmask_b32_e64 v7, v7, v9, s[0:1]
	v_mul_f32_e32 v7, 0x3e800000, v7
	v_cmp_o_f32_e64 s[0:1], v6, v6
	v_cndmask_b32_e64 v6, v4, v7, s[0:1]
	v_add_f32_e32 v6, v11, v6
	v_mul_f32_e32 v7, 0x4f800000, v6
	v_cmp_gt_f32_e64 s[0:1], s42, v6
	v_cndmask_b32_e64 v6, v6, v7, s[0:1]
	v_sqrt_f32_e32 v7, v6
	s_add_u32 s26, s26, 4
	s_addc_u32 s27, s27, 0
	s_cmp_lg_u32 s31, 0
	v_add_u32_e32 v9, -1, v7
	v_add_u32_e32 v10, 1, v7
	v_fma_f32 v11, -v9, v7, v6
	v_fma_f32 v12, -v10, v7, v6
	v_cmp_ge_f32_e64 s[2:3], 0, v11
	v_cndmask_b32_e64 v7, v7, v9, s[2:3]
	v_cmp_lt_f32_e64 s[2:3], 0, v12
	v_cndmask_b32_e64 v7, v7, v10, s[2:3]
	v_mul_f32_e32 v9, 0x37800000, v7
	v_cndmask_b32_e64 v7, v7, v9, s[0:1]
	v_cmp_class_f32_e64 s[0:1], v6, v5
	v_cndmask_b32_e64 v6, v7, v6, s[0:1]
	v_mul_f32_e32 v6, v8, v6
	v_cndmask_b32_e64 v6, v6, -v6, vcc
	global_store_dword v0, v6, s[28:29] offset:4
	s_cbranch_scc1 .LBB1_13
.LBB1_14:
	s_andn2_b64 vcc, exec, s[24:25]
	s_cbranch_vccnz .LBB1_17
; %bb.15:
	v_mov_b32_e32 v2, 0
	global_load_dwordx2 v[0:1], v2, s[12:13] offset:12
	s_mov_b32 s23, 0x3f2aaaab
	s_mov_b32 s16, 0x3f317218
	v_mov_b32_e32 v8, 0x3e91f4c4
	v_mov_b32_e32 v5, 0x3ecccdef
	s_movk_i32 s6, 0x204
	s_mov_b32 s7, 0x42b17218
	v_mov_b32_e32 v6, 0x37000000
	s_mov_b32 s22, 0x3fb8aa3b
	s_mov_b32 s8, 0x7f800000
	s_mov_b32 s17, 0xc2ce8ed0
	v_mov_b32_e32 v4, 0x7f800000
	s_brev_b32 s9, -2
	v_mov_b32_e32 v3, 0x7fc00000
	s_mul_i32 s24, s30, s10
	global_load_dword v7, v2, s[14:15] offset:4
	s_waitcnt vmcnt(1)
	v_frexp_mant_f32_e64 v12, |v0|
	v_cmp_eq_f32_e32 vcc, 1.0, v0
	v_cmp_gt_f32_e64 s[2:3], s23, v12
	v_cndmask_b32_e64 v11, 2.0, 1.0, vcc
	v_cvt_f64_f32_e64 v[9:10], |v0|
	v_cndmask_b32_e64 v13, 1.0, 2.0, s[2:3]
	v_mul_f32_e32 v15, 0.5, v11
	v_mul_f32_e32 v12, v12, v13
	v_trunc_f32_e32 v13, v15
	v_add_f32_e32 v16, 1.0, v12
	v_cmp_neq_f32_e64 s[0:1], v13, v15
	v_rcp_f32_e32 v15, v16
	v_frexp_exp_i32_f64_e32 v9, v[9:10]
	v_trunc_f32_e32 v14, v11
	v_cmp_eq_f32_e32 vcc, v14, v11
	v_add_f32_e32 v14, -1.0, v12
	v_add_f32_e32 v13, -1.0, v16
	v_sub_f32_e32 v12, v12, v13
	v_mul_f32_e32 v13, v14, v15
	v_mul_f32_e32 v17, v16, v13
	v_fma_f32 v16, v13, v16, -v17
	v_fmac_f32_e32 v16, v13, v12
	v_add_f32_e32 v12, v17, v16
	v_subbrev_co_u32_e64 v9, s[2:3], 0, v9, s[2:3]
	v_sub_f32_e32 v18, v14, v12
	v_sub_f32_e32 v17, v12, v17
	v_cvt_f32_i32_e32 v9, v9
	v_sub_f32_e32 v14, v14, v18
	v_sub_f32_e32 v16, v17, v16
	;; [unrolled: 1-line block ×3, first 2 shown]
	v_add_f32_e32 v12, v16, v12
	v_add_f32_e32 v12, v18, v12
	v_mul_f32_e32 v14, 0x3f317218, v9
	v_mul_f32_e32 v12, v15, v12
	v_fma_f32 v15, v9, s16, -v14
	v_add_f32_e32 v16, v13, v12
	v_fmac_f32_e32 v15, 0xb102e308, v9
	v_sub_f32_e32 v9, v16, v13
	v_mul_f32_e32 v13, v16, v16
	v_sub_f32_e32 v9, v12, v9
	v_add_f32_e32 v18, v14, v15
	v_fma_f32 v12, v16, v16, -v13
	v_add_f32_e32 v19, v9, v9
	v_sub_f32_e32 v14, v18, v14
	v_fmac_f32_e32 v12, v16, v19
	v_sub_f32_e32 v14, v15, v14
	v_add_f32_e32 v15, v13, v12
	v_sub_f32_e32 v13, v15, v13
	v_mul_f32_e32 v19, v16, v15
	v_sub_f32_e32 v12, v12, v13
	v_fma_f32 v13, v15, v16, -v19
	v_fmac_f32_e32 v8, 0x3e76c4e1, v15
	v_fmac_f32_e32 v13, v15, v9
	v_fma_f32 v8, v15, v8, v5
	v_ldexp_f32 v17, v16, 1
	v_fmac_f32_e32 v13, v12, v16
	v_mul_f32_e32 v16, v15, v8
	v_fma_f32 v15, v15, v8, -v16
	v_fmac_f32_e32 v15, v12, v8
	v_add_f32_e32 v8, v19, v13
	v_sub_f32_e32 v12, v8, v19
	v_add_f32_e32 v19, v16, v15
	v_sub_f32_e32 v12, v13, v12
	;; [unrolled: 2-line block ×3, first 2 shown]
	v_sub_f32_e32 v15, v15, v16
	v_add_f32_e32 v16, 0xbf2aaaaa, v13
	v_add_f32_e32 v15, 0x31739010, v15
	v_sub_f32_e32 v16, v19, v16
	v_add_f32_e32 v15, v15, v16
	v_add_f32_e32 v16, v13, v15
	v_sub_f32_e32 v13, v13, v16
	v_mul_f32_e32 v19, v8, v16
	v_add_f32_e32 v13, v15, v13
	v_fma_f32 v15, v8, v16, -v19
	v_fmac_f32_e32 v15, v8, v13
	v_fmac_f32_e32 v15, v12, v16
	v_add_f32_e32 v8, v19, v15
	v_sub_f32_e32 v12, v8, v19
	v_add_f32_e32 v13, v17, v8
	v_ldexp_f32 v9, v9, 1
	v_sub_f32_e32 v12, v15, v12
	v_sub_f32_e32 v15, v13, v17
	v_sub_f32_e32 v8, v8, v15
	v_add_f32_e32 v9, v9, v12
	v_add_f32_e32 v8, v9, v8
	v_add_f32_e32 v9, v13, v8
	v_sub_f32_e32 v12, v9, v13
	v_add_f32_e32 v13, v18, v9
	v_sub_f32_e32 v8, v8, v12
	v_sub_f32_e32 v12, v13, v18
	v_sub_f32_e32 v15, v13, v12
	v_sub_f32_e32 v9, v9, v12
	v_sub_f32_e32 v15, v18, v15
	v_add_f32_e32 v12, v14, v8
	v_add_f32_e32 v9, v9, v15
	v_sub_f32_e32 v16, v12, v14
	v_add_f32_e32 v9, v12, v9
	v_sub_f32_e32 v15, v12, v16
	;; [unrolled: 2-line block ×3, first 2 shown]
	v_sub_f32_e32 v14, v14, v15
	v_sub_f32_e32 v13, v12, v13
	v_add_f32_e32 v8, v8, v14
	v_sub_f32_e32 v9, v9, v13
	v_add_f32_e32 v8, v8, v9
	v_add_f32_e32 v9, v12, v8
	v_sub_f32_e32 v12, v9, v12
	v_mul_f32_e32 v13, v11, v9
	v_sub_f32_e32 v8, v8, v12
	v_fma_f32 v9, v11, v9, -v13
	v_fmac_f32_e32 v9, v11, v8
	v_add_f32_e32 v8, v13, v9
	v_cmp_class_f32_e64 s[2:3], v13, s6
	v_sub_f32_e32 v11, v8, v13
	v_cndmask_b32_e64 v8, v8, v13, s[2:3]
	v_cmp_eq_f32_e64 s[2:3], s7, v8
	v_sub_f32_e32 v9, v9, v11
	v_cndmask_b32_e64 v11, 0, v6, s[2:3]
	v_sub_f32_e32 v12, v8, v11
	v_mul_f32_e32 v13, 0x3fb8aa3b, v12
	v_fma_f32 v14, v12, s22, -v13
	v_rndne_f32_e32 v15, v13
	v_fmac_f32_e32 v14, 0x32a5705f, v12
	v_sub_f32_e32 v13, v13, v15
	v_add_f32_e32 v13, v13, v14
	v_cvt_i32_f32_e32 v15, v15
	v_exp_f32_e32 v13, v13
	v_cmp_neq_f32_e64 s[2:3], |v8|, s8
	v_cndmask_b32_e64 v8, 0, v9, s[2:3]
	v_cmp_ngt_f32_e64 s[2:3], s17, v12
	v_ldexp_f32 v9, v13, v15
	v_cndmask_b32_e64 v9, 0, v9, s[2:3]
	v_cmp_nlt_f32_e64 s[2:3], s7, v12
	v_add_f32_e32 v8, v11, v8
	v_cndmask_b32_e64 v9, v4, v9, s[2:3]
	s_and_b64 s[0:1], vcc, s[0:1]
	v_fma_f32 v8, v9, v8, v9
	v_cmp_class_f32_e64 s[2:3], v9, s6
	v_cndmask_b32_e64 v10, 1.0, v0, s[0:1]
	v_cndmask_b32_e64 v8, v8, v9, s[2:3]
	v_bfi_b32 v8, s9, v8, v10
	v_cndmask_b32_e32 v9, v3, v8, vcc
	v_cmp_gt_f32_e32 vcc, 0, v0
	v_cndmask_b32_e32 v9, v8, v9, vcc
	v_cmp_eq_f32_e32 vcc, 0, v0
	v_cndmask_b32_e64 v8, v4, 0, vcc
	v_cndmask_b32_e64 v10, 0, v0, s[0:1]
	v_cmp_eq_f32_e64 s[0:1], 1.0, v1
	v_frexp_mant_f32_e64 v11, |v1|
	v_bfi_b32 v10, s9, v8, v10
	v_cndmask_b32_e64 v8, 2.0, 1.0, s[0:1]
	v_cmp_gt_f32_e64 s[0:1], s23, v11
	v_cndmask_b32_e64 v12, 1.0, 2.0, s[0:1]
	v_mul_f32_e32 v11, v11, v12
	v_add_f32_e32 v12, 1.0, v11
	v_rcp_f32_e32 v13, v12
	v_add_f32_e32 v14, -1.0, v11
	v_add_f32_e32 v15, -1.0, v12
	v_sub_f32_e32 v11, v11, v15
	v_mul_f32_e32 v15, v14, v13
	v_mul_f32_e32 v16, v12, v15
	v_fma_f32 v12, v15, v12, -v16
	v_fmac_f32_e32 v12, v15, v11
	v_add_f32_e32 v11, v16, v12
	v_sub_f32_e32 v17, v14, v11
	v_sub_f32_e32 v16, v11, v16
	;; [unrolled: 1-line block ×5, first 2 shown]
	v_add_f32_e32 v11, v12, v11
	v_add_f32_e32 v11, v17, v11
	v_mul_f32_e32 v11, v13, v11
	v_add_f32_e32 v13, v15, v11
	v_sub_f32_e32 v12, v13, v15
	v_sub_f32_e32 v14, v11, v12
	v_mul_f32_e32 v11, v13, v13
	v_fma_f32 v12, v13, v13, -v11
	v_add_f32_e32 v15, v14, v14
	v_fmac_f32_e32 v12, v13, v15
	v_add_f32_e32 v15, v11, v12
	v_sub_f32_e32 v11, v15, v11
	v_sub_f32_e32 v11, v12, v11
	v_mul_f32_e32 v12, v13, v15
	v_fma_f32 v17, v15, v13, -v12
	v_fmac_f32_e32 v17, v15, v14
	v_mov_b32_e32 v16, 0x3e91f4c4
	v_fmac_f32_e32 v17, v11, v13
	v_fmac_f32_e32 v16, 0x3e76c4e1, v15
	v_add_f32_e32 v18, v12, v17
	v_fma_f32 v16, v15, v16, v5
	v_sub_f32_e32 v12, v18, v12
	v_sub_f32_e32 v17, v17, v12
	v_mul_f32_e32 v12, v15, v16
	v_fma_f32 v15, v15, v16, -v12
	v_fmac_f32_e32 v15, v11, v16
	v_add_f32_e32 v16, v12, v15
	v_sub_f32_e32 v19, v16, v12
	v_cvt_f64_f32_e64 v[11:12], |v1|
	v_sub_f32_e32 v15, v15, v19
	v_add_f32_e32 v19, 0x3f2aaaaa, v16
	v_add_f32_e32 v15, 0x31739010, v15
	v_frexp_exp_i32_f64_e32 v11, v[11:12]
	v_add_f32_e32 v12, 0xbf2aaaaa, v19
	v_sub_f32_e32 v12, v16, v12
	v_add_f32_e32 v12, v15, v12
	v_add_f32_e32 v15, v19, v12
	v_sub_f32_e32 v16, v19, v15
	v_add_f32_e32 v12, v12, v16
	v_mul_f32_e32 v16, v18, v15
	v_subbrev_co_u32_e64 v11, s[0:1], 0, v11, s[0:1]
	v_cvt_f32_i32_e32 v11, v11
	v_fma_f32 v19, v18, v15, -v16
	v_fmac_f32_e32 v19, v18, v12
	v_fmac_f32_e32 v19, v17, v15
	v_mul_f32_e32 v12, 0x3f317218, v11
	v_fma_f32 v15, v11, s16, -v12
	v_fmac_f32_e32 v15, 0xb102e308, v11
	v_ldexp_f32 v11, v14, 1
	v_add_f32_e32 v14, v12, v15
	v_sub_f32_e32 v12, v14, v12
	v_ldexp_f32 v13, v13, 1
	v_sub_f32_e32 v12, v15, v12
	v_add_f32_e32 v15, v16, v19
	v_sub_f32_e32 v16, v15, v16
	v_add_f32_e32 v17, v13, v15
	v_sub_f32_e32 v16, v19, v16
	v_sub_f32_e32 v13, v17, v13
	;; [unrolled: 1-line block ×3, first 2 shown]
	v_add_f32_e32 v11, v11, v16
	v_add_f32_e32 v11, v11, v13
	;; [unrolled: 1-line block ×3, first 2 shown]
	v_sub_f32_e32 v15, v13, v17
	v_sub_f32_e32 v11, v11, v15
	v_add_f32_e32 v15, v14, v13
	v_sub_f32_e32 v16, v15, v14
	v_sub_f32_e32 v17, v15, v16
	;; [unrolled: 1-line block ×4, first 2 shown]
	v_add_f32_e32 v13, v13, v14
	v_add_f32_e32 v14, v12, v11
	v_sub_f32_e32 v16, v14, v12
	v_sub_f32_e32 v17, v14, v16
	;; [unrolled: 1-line block ×4, first 2 shown]
	v_add_f32_e32 v11, v11, v12
	v_add_f32_e32 v12, v14, v13
	;; [unrolled: 1-line block ×3, first 2 shown]
	v_sub_f32_e32 v14, v13, v15
	v_sub_f32_e32 v12, v12, v14
	v_add_f32_e32 v11, v11, v12
	v_add_f32_e32 v12, v13, v11
	v_sub_f32_e32 v13, v12, v13
	v_sub_f32_e32 v11, v11, v13
	v_mul_f32_e32 v13, v8, v12
	v_fma_f32 v12, v8, v12, -v13
	v_fmac_f32_e32 v12, v8, v11
	v_add_f32_e32 v11, v13, v12
	v_cmp_class_f32_e64 s[0:1], v13, s6
	v_sub_f32_e32 v14, v11, v13
	v_cndmask_b32_e64 v11, v11, v13, s[0:1]
	v_cmp_eq_f32_e64 s[0:1], s7, v11
	v_cndmask_b32_e64 v13, 0, v6, s[0:1]
	v_sub_f32_e32 v12, v12, v14
	v_sub_f32_e32 v14, v11, v13
	v_mul_f32_e32 v15, 0x3fb8aa3b, v14
	v_fma_f32 v16, v14, s22, -v15
	v_rndne_f32_e32 v17, v15
	v_fmac_f32_e32 v16, 0x32a5705f, v14
	v_sub_f32_e32 v15, v15, v17
	v_add_f32_e32 v15, v15, v16
	v_exp_f32_e32 v15, v15
	v_cvt_i32_f32_e32 v16, v17
	v_cmp_neq_f32_e64 s[0:1], |v11|, s8
	v_cndmask_b32_e64 v11, 0, v12, s[0:1]
	v_cmp_ngt_f32_e64 s[0:1], s17, v14
	v_ldexp_f32 v12, v15, v16
	v_cndmask_b32_e64 v12, 0, v12, s[0:1]
	v_cmp_nlt_f32_e64 s[0:1], s7, v14
	v_add_f32_e32 v11, v13, v11
	v_cndmask_b32_e64 v12, v4, v12, s[0:1]
	v_fma_f32 v11, v12, v11, v12
	v_cmp_class_f32_e64 s[0:1], v12, s6
	v_cndmask_b32_e64 v11, v11, v12, s[0:1]
	v_trunc_f32_e32 v12, v8
	v_cmp_eq_f32_e64 s[0:1], v12, v8
	v_mul_f32_e32 v8, 0.5, v8
	v_cmp_class_f32_e64 s[2:3], v0, s6
	v_trunc_f32_e32 v12, v8
	s_or_b64 vcc, vcc, s[2:3]
	v_cmp_neq_f32_e64 s[2:3], v12, v8
	s_and_b64 s[2:3], s[0:1], s[2:3]
	v_cndmask_b32_e64 v8, 1.0, v1, s[2:3]
	v_bfi_b32 v8, s9, v11, v8
	v_cndmask_b32_e64 v11, v3, v8, s[0:1]
	v_cmp_gt_f32_e64 s[0:1], 0, v1
	v_cndmask_b32_e64 v14, v8, v11, s[0:1]
	v_cmp_class_f32_e64 s[4:5], v1, s6
	v_cmp_eq_f32_e64 s[0:1], 0, v1
	v_cndmask_b32_e64 v8, v4, 0, s[0:1]
	v_cndmask_b32_e64 v11, 0, v1, s[2:3]
	s_or_b64 s[2:3], s[0:1], s[4:5]
	s_sub_i32 s0, s24, s10
	s_mul_i32 s0, s0, 12
	s_ashr_i32 s1, s0, 31
	s_lshl_b64 s[0:1], s[0:1], 2
	s_add_u32 s0, s12, s0
	s_addc_u32 s1, s13, s1
	v_bfi_b32 v15, s9, v8, v11
	global_load_dword v8, v2, s[0:1] offset:12
	v_cndmask_b32_e32 v9, v9, v10, vcc
	v_cmp_o_f32_e32 vcc, v0, v0
	v_cndmask_b32_e32 v0, v3, v9, vcc
	v_cndmask_b32_e64 v9, v14, v15, s[2:3]
	v_cmp_o_f32_e32 vcc, v1, v1
	v_cndmask_b32_e32 v9, v3, v9, vcc
	v_add_f32_e32 v0, v0, v9
	v_mul_f32_e32 v9, 0x4f800000, v0
	v_mov_b32_e32 v10, 0x3e91f4c4
	s_waitcnt vmcnt(0)
	v_frexp_mant_f32_e64 v11, |v8|
	v_cmp_gt_f32_e64 s[0:1], s23, v11
	v_cndmask_b32_e64 v12, 1.0, 2.0, s[0:1]
	v_mul_f32_e32 v11, v11, v12
	v_add_f32_e32 v12, 1.0, v11
	v_rcp_f32_e32 v13, v12
	v_add_f32_e32 v16, -1.0, v11
	v_add_f32_e32 v17, -1.0, v12
	v_sub_f32_e32 v11, v11, v17
	v_mul_f32_e32 v17, v16, v13
	v_mul_f32_e32 v18, v12, v17
	v_fma_f32 v12, v17, v12, -v18
	v_fmac_f32_e32 v12, v17, v11
	v_add_f32_e32 v11, v18, v12
	v_sub_f32_e32 v19, v16, v11
	v_sub_f32_e32 v18, v11, v18
	;; [unrolled: 1-line block ×5, first 2 shown]
	v_add_f32_e32 v11, v12, v11
	v_add_f32_e32 v11, v19, v11
	v_mul_f32_e32 v11, v13, v11
	v_add_f32_e32 v13, v17, v11
	v_sub_f32_e32 v12, v13, v17
	v_sub_f32_e32 v16, v11, v12
	v_mul_f32_e32 v11, v13, v13
	v_fma_f32 v12, v13, v13, -v11
	v_add_f32_e32 v17, v16, v16
	v_fmac_f32_e32 v12, v13, v17
	v_add_f32_e32 v17, v11, v12
	v_mov_b32_e32 v18, 0x3e91f4c4
	v_fmac_f32_e32 v18, 0x3e76c4e1, v17
	v_fma_f32 v18, v17, v18, v5
	v_sub_f32_e32 v11, v17, v11
	v_mul_f32_e32 v19, v13, v17
	v_sub_f32_e32 v11, v12, v11
	v_fma_f32 v20, v17, v13, -v19
	v_mul_f32_e32 v12, v17, v18
	v_fmac_f32_e32 v20, v17, v16
	v_fma_f32 v17, v17, v18, -v12
	v_fmac_f32_e32 v17, v11, v18
	v_fmac_f32_e32 v20, v11, v13
	v_add_f32_e32 v11, v12, v17
	v_sub_f32_e32 v12, v11, v12
	v_sub_f32_e32 v12, v17, v12
	v_add_f32_e32 v17, 0x3f2aaaaa, v11
	v_add_f32_e32 v18, 0xbf2aaaaa, v17
	v_sub_f32_e32 v11, v11, v18
	v_add_f32_e32 v12, 0x31739010, v12
	v_add_f32_e32 v11, v12, v11
	;; [unrolled: 1-line block ×3, first 2 shown]
	v_sub_f32_e32 v12, v17, v18
	v_add_f32_e32 v17, v11, v12
	v_cvt_f64_f32_e64 v[11:12], |v8|
	v_ldexp_f32 v13, v13, 1
	v_cmp_class_f32_e64 s[26:27], v8, s6
	v_frexp_exp_i32_f64_e32 v11, v[11:12]
	v_add_f32_e32 v12, v19, v20
	v_mul_f32_e32 v21, v12, v18
	v_fma_f32 v22, v12, v18, -v21
	v_fmac_f32_e32 v22, v12, v17
	v_sub_f32_e32 v12, v12, v19
	v_sub_f32_e32 v12, v20, v12
	v_fmac_f32_e32 v22, v12, v18
	v_subbrev_co_u32_e64 v11, s[0:1], 0, v11, s[0:1]
	v_cvt_f32_i32_e32 v11, v11
	v_cmp_eq_f32_e64 s[0:1], 1.0, v8
	v_mul_f32_e32 v12, 0x3f317218, v11
	v_fma_f32 v17, v11, s16, -v12
	v_fmac_f32_e32 v17, 0xb102e308, v11
	v_ldexp_f32 v11, v16, 1
	v_add_f32_e32 v16, v12, v17
	v_sub_f32_e32 v12, v16, v12
	v_sub_f32_e32 v12, v17, v12
	v_add_f32_e32 v17, v21, v22
	v_sub_f32_e32 v18, v17, v21
	v_add_f32_e32 v19, v13, v17
	v_sub_f32_e32 v18, v22, v18
	v_sub_f32_e32 v13, v19, v13
	;; [unrolled: 1-line block ×3, first 2 shown]
	v_add_f32_e32 v11, v11, v18
	v_add_f32_e32 v11, v11, v13
	;; [unrolled: 1-line block ×3, first 2 shown]
	v_sub_f32_e32 v17, v13, v19
	v_sub_f32_e32 v11, v11, v17
	v_add_f32_e32 v17, v16, v13
	v_sub_f32_e32 v18, v17, v16
	v_sub_f32_e32 v19, v17, v18
	;; [unrolled: 1-line block ×4, first 2 shown]
	v_add_f32_e32 v13, v13, v16
	v_add_f32_e32 v16, v12, v11
	v_sub_f32_e32 v18, v16, v12
	v_sub_f32_e32 v19, v16, v18
	;; [unrolled: 1-line block ×4, first 2 shown]
	v_add_f32_e32 v11, v11, v12
	v_add_f32_e32 v12, v16, v13
	;; [unrolled: 1-line block ×3, first 2 shown]
	v_sub_f32_e32 v16, v13, v17
	v_sub_f32_e32 v12, v12, v16
	v_add_f32_e32 v11, v11, v12
	v_add_f32_e32 v12, v13, v11
	v_cndmask_b32_e64 v19, 2.0, 1.0, s[0:1]
	v_sub_f32_e32 v13, v12, v13
	v_sub_f32_e32 v11, v11, v13
	v_mul_f32_e32 v13, v19, v12
	v_fma_f32 v12, v19, v12, -v13
	v_fmac_f32_e32 v12, v19, v11
	v_add_f32_e32 v11, v13, v12
	v_cmp_class_f32_e64 s[0:1], v13, s6
	v_sub_f32_e32 v16, v11, v13
	v_cndmask_b32_e64 v11, v11, v13, s[0:1]
	v_cmp_eq_f32_e64 s[0:1], s7, v11
	v_cndmask_b32_e64 v13, 0, v6, s[0:1]
	v_sub_f32_e32 v12, v12, v16
	v_sub_f32_e32 v16, v11, v13
	v_mul_f32_e32 v17, 0x3fb8aa3b, v16
	v_fma_f32 v18, v16, s22, -v17
	v_rndne_f32_e32 v20, v17
	v_fmac_f32_e32 v18, 0x32a5705f, v16
	v_sub_f32_e32 v17, v17, v20
	v_add_f32_e32 v17, v17, v18
	v_exp_f32_e32 v17, v17
	v_cvt_i32_f32_e32 v18, v20
	v_cmp_neq_f32_e64 s[0:1], |v11|, s8
	v_cndmask_b32_e64 v11, 0, v12, s[0:1]
	v_cmp_ngt_f32_e64 s[0:1], s17, v16
	v_ldexp_f32 v12, v17, v18
	v_cndmask_b32_e64 v12, 0, v12, s[0:1]
	v_cmp_nlt_f32_e64 s[0:1], s7, v16
	v_add_f32_e32 v11, v13, v11
	v_cndmask_b32_e64 v12, v4, v12, s[0:1]
	v_fma_f32 v11, v12, v11, v12
	v_cmp_class_f32_e64 s[0:1], v12, s6
	v_cndmask_b32_e64 v11, v11, v12, s[0:1]
	v_trunc_f32_e32 v12, v19
	v_cmp_eq_f32_e64 s[0:1], v12, v19
	v_mul_f32_e32 v12, 0.5, v19
	v_trunc_f32_e32 v13, v12
	v_cmp_neq_f32_e64 s[4:5], v13, v12
	s_and_b64 s[4:5], s[0:1], s[4:5]
	v_cndmask_b32_e64 v12, 1.0, v8, s[4:5]
	v_bfi_b32 v11, s9, v11, v12
	v_cndmask_b32_e64 v12, v3, v11, s[0:1]
	v_cmp_gt_f32_e64 s[0:1], 0, v8
	v_cndmask_b32_e64 v13, 0, v8, s[4:5]
	s_mul_i32 s4, s24, 12
	v_cndmask_b32_e64 v12, v11, v12, s[0:1]
	v_cmp_eq_f32_e64 s[0:1], 0, v8
	s_ashr_i32 s5, s4, 31
	v_cndmask_b32_e64 v11, v4, 0, s[0:1]
	s_or_b64 s[0:1], s[0:1], s[26:27]
	s_lshl_b64 s[4:5], s[4:5], 2
	s_add_u32 s4, s12, s4
	s_addc_u32 s5, s13, s5
	v_bfi_b32 v13, s9, v11, v13
	global_load_dword v11, v2, s[4:5] offset:16
	s_mov_b32 s24, 0xf800000
	v_cmp_gt_f32_e32 vcc, s24, v0
	v_cndmask_b32_e32 v9, v0, v9, vcc
	v_sqrt_f32_e32 v0, v9
	v_add_u32_e32 v14, -1, v0
	v_fma_f32 v15, -v14, v0, v9
	v_cmp_ge_f32_e64 s[2:3], 0, v15
	v_add_u32_e32 v15, 1, v0
	v_cndmask_b32_e64 v14, v0, v14, s[2:3]
	v_fma_f32 v0, -v15, v0, v9
	v_cmp_lt_f32_e64 s[2:3], 0, v0
	v_cndmask_b32_e64 v0, v14, v15, s[2:3]
	v_mul_f32_e32 v14, 0x37800000, v0
	v_cndmask_b32_e32 v14, v0, v14, vcc
	v_mov_b32_e32 v0, 0x260
	v_cmp_class_f32_e32 vcc, v9, v0
	v_cndmask_b32_e32 v9, v14, v9, vcc
	v_mul_f32_e32 v7, v7, v9
	v_cmp_lt_f32_e32 vcc, 0, v1
	v_cndmask_b32_e64 v1, v7, -v7, vcc
	global_store_dword v2, v1, s[12:13] offset:4
	s_waitcnt vmcnt(1)
	v_cmp_eq_f32_e32 vcc, 1.0, v11
	v_frexp_mant_f32_e64 v7, |v11|
	v_cndmask_b32_e64 v1, 2.0, 1.0, vcc
	v_cmp_gt_f32_e32 vcc, s23, v7
	v_cndmask_b32_e64 v9, 1.0, 2.0, vcc
	v_mul_f32_e32 v7, v7, v9
	v_add_f32_e32 v9, 1.0, v7
	v_rcp_f32_e32 v14, v9
	v_add_f32_e32 v15, -1.0, v7
	v_add_f32_e32 v16, -1.0, v9
	v_sub_f32_e32 v7, v7, v16
	v_mul_f32_e32 v16, v15, v14
	v_mul_f32_e32 v17, v9, v16
	v_fma_f32 v9, v16, v9, -v17
	v_fmac_f32_e32 v9, v16, v7
	v_add_f32_e32 v7, v17, v9
	v_sub_f32_e32 v18, v15, v7
	v_sub_f32_e32 v17, v7, v17
	;; [unrolled: 1-line block ×5, first 2 shown]
	v_add_f32_e32 v7, v9, v7
	v_add_f32_e32 v7, v18, v7
	v_mul_f32_e32 v7, v14, v7
	v_add_f32_e32 v14, v16, v7
	v_sub_f32_e32 v9, v14, v16
	v_sub_f32_e32 v7, v7, v9
	v_mul_f32_e32 v9, v14, v14
	v_fma_f32 v15, v14, v14, -v9
	v_add_f32_e32 v16, v7, v7
	v_fmac_f32_e32 v15, v14, v16
	v_add_f32_e32 v16, v9, v15
	v_fmac_f32_e32 v10, 0x3e76c4e1, v16
	v_fmac_f32_e32 v5, v16, v10
	v_sub_f32_e32 v9, v16, v9
	v_mul_f32_e32 v10, v14, v16
	v_sub_f32_e32 v9, v15, v9
	v_fma_f32 v15, v16, v14, -v10
	v_fmac_f32_e32 v15, v16, v7
	v_fmac_f32_e32 v15, v9, v14
	v_add_f32_e32 v17, v10, v15
	v_sub_f32_e32 v10, v17, v10
	v_sub_f32_e32 v15, v15, v10
	v_mul_f32_e32 v10, v16, v5
	v_fma_f32 v16, v16, v5, -v10
	v_fmac_f32_e32 v16, v9, v5
	v_add_f32_e32 v5, v10, v16
	v_sub_f32_e32 v19, v5, v10
	v_cvt_f64_f32_e64 v[9:10], |v11|
	v_add_f32_e32 v18, 0x3f2aaaaa, v5
	v_sub_f32_e32 v16, v16, v19
	v_add_f32_e32 v19, 0xbf2aaaaa, v18
	v_frexp_exp_i32_f64_e32 v9, v[9:10]
	v_add_f32_e32 v16, 0x31739010, v16
	v_sub_f32_e32 v5, v5, v19
	v_add_f32_e32 v5, v16, v5
	v_add_f32_e32 v10, v18, v5
	v_sub_f32_e32 v16, v18, v10
	v_add_f32_e32 v5, v5, v16
	v_mul_f32_e32 v16, v17, v10
	v_subbrev_co_u32_e32 v9, vcc, 0, v9, vcc
	v_cvt_f32_i32_e32 v9, v9
	v_fma_f32 v18, v17, v10, -v16
	v_fmac_f32_e32 v18, v17, v5
	v_fmac_f32_e32 v18, v15, v10
	v_mul_f32_e32 v5, 0x3f317218, v9
	v_fma_f32 v10, v9, s16, -v5
	v_fmac_f32_e32 v10, 0xb102e308, v9
	v_ldexp_f32 v9, v14, 1
	v_add_f32_e32 v14, v5, v10
	v_sub_f32_e32 v5, v14, v5
	v_sub_f32_e32 v5, v10, v5
	v_add_f32_e32 v10, v16, v18
	v_sub_f32_e32 v15, v10, v16
	v_add_f32_e32 v16, v9, v10
	v_ldexp_f32 v7, v7, 1
	v_sub_f32_e32 v15, v18, v15
	v_sub_f32_e32 v9, v16, v9
	;; [unrolled: 1-line block ×3, first 2 shown]
	v_add_f32_e32 v7, v7, v15
	v_add_f32_e32 v7, v7, v9
	;; [unrolled: 1-line block ×3, first 2 shown]
	v_sub_f32_e32 v10, v9, v16
	v_sub_f32_e32 v7, v7, v10
	v_add_f32_e32 v10, v14, v9
	v_sub_f32_e32 v15, v10, v14
	v_sub_f32_e32 v16, v10, v15
	;; [unrolled: 1-line block ×4, first 2 shown]
	v_add_f32_e32 v9, v9, v14
	v_add_f32_e32 v14, v5, v7
	v_sub_f32_e32 v15, v14, v5
	v_sub_f32_e32 v16, v14, v15
	;; [unrolled: 1-line block ×4, first 2 shown]
	v_add_f32_e32 v5, v7, v5
	v_add_f32_e32 v7, v14, v9
	;; [unrolled: 1-line block ×3, first 2 shown]
	v_sub_f32_e32 v10, v9, v10
	v_sub_f32_e32 v7, v7, v10
	v_add_f32_e32 v5, v5, v7
	v_add_f32_e32 v7, v9, v5
	v_sub_f32_e32 v9, v7, v9
	v_sub_f32_e32 v5, v5, v9
	v_mul_f32_e32 v9, v1, v7
	v_fma_f32 v7, v1, v7, -v9
	v_fmac_f32_e32 v7, v1, v5
	v_add_f32_e32 v5, v9, v7
	v_cmp_class_f32_e64 vcc, v9, s6
	v_sub_f32_e32 v10, v5, v9
	v_cndmask_b32_e32 v5, v5, v9, vcc
	v_cmp_eq_f32_e32 vcc, s7, v5
	v_cndmask_b32_e32 v6, 0, v6, vcc
	v_sub_f32_e32 v9, v5, v6
	v_sub_f32_e32 v7, v7, v10
	v_mul_f32_e32 v10, 0x3fb8aa3b, v9
	v_fma_f32 v14, v9, s22, -v10
	v_rndne_f32_e32 v15, v10
	v_fmac_f32_e32 v14, 0x32a5705f, v9
	v_sub_f32_e32 v10, v10, v15
	v_add_f32_e32 v10, v10, v14
	v_exp_f32_e32 v10, v10
	v_cvt_i32_f32_e32 v14, v15
	v_cmp_neq_f32_e64 vcc, |v5|, s8
	v_cndmask_b32_e32 v5, 0, v7, vcc
	v_add_f32_e32 v5, v6, v5
	v_ldexp_f32 v6, v10, v14
	v_cmp_ngt_f32_e32 vcc, s17, v9
	v_cndmask_b32_e32 v6, 0, v6, vcc
	v_cmp_nlt_f32_e32 vcc, s7, v9
	v_cndmask_b32_e32 v6, v4, v6, vcc
	v_fma_f32 v5, v6, v5, v6
	v_cmp_class_f32_e64 vcc, v6, s6
	v_cndmask_b32_e32 v5, v5, v6, vcc
	v_trunc_f32_e32 v6, v1
	v_cmp_eq_f32_e32 vcc, v6, v1
	v_mul_f32_e32 v1, 0.5, v1
	v_trunc_f32_e32 v6, v1
	v_cmp_neq_f32_e64 s[2:3], v6, v1
	s_and_b64 s[2:3], vcc, s[2:3]
	v_cndmask_b32_e64 v1, 1.0, v11, s[2:3]
	v_bfi_b32 v1, s9, v5, v1
	v_cndmask_b32_e32 v5, v3, v1, vcc
	v_cmp_gt_f32_e32 vcc, 0, v11
	v_cndmask_b32_e32 v1, v1, v5, vcc
	v_cmp_class_f32_e64 s[6:7], v11, s6
	v_cmp_eq_f32_e32 vcc, 0, v11
	v_cndmask_b32_e64 v5, 0, v11, s[2:3]
	s_ashr_i32 s3, s11, 31
	s_mov_b32 s2, s11
	v_cndmask_b32_e64 v4, v4, 0, vcc
	s_or_b64 vcc, vcc, s[6:7]
	s_lshl_b64 s[2:3], s[2:3], 2
	s_add_u32 s2, s14, s2
	s_addc_u32 s3, s15, s3
	v_bfi_b32 v4, s9, v4, v5
	global_load_dword v5, v2, s[2:3]
	v_cndmask_b32_e64 v6, v12, v13, s[0:1]
	v_cmp_o_f32_e64 s[0:1], v8, v8
	v_cndmask_b32_e32 v1, v1, v4, vcc
	v_cmp_o_f32_e32 vcc, v11, v11
	v_cndmask_b32_e64 v6, v3, v6, s[0:1]
	v_cndmask_b32_e32 v1, v3, v1, vcc
	v_add_f32_e32 v1, v6, v1
	v_mul_f32_e32 v3, 0x4f800000, v1
	v_cmp_gt_f32_e32 vcc, s24, v1
	v_cndmask_b32_e32 v1, v1, v3, vcc
	v_sqrt_f32_e32 v3, v1
	v_add_u32_e32 v4, -1, v3
	v_fma_f32 v6, -v4, v3, v1
	v_cmp_ge_f32_e64 s[0:1], 0, v6
	v_add_u32_e32 v6, 1, v3
	v_cndmask_b32_e64 v4, v3, v4, s[0:1]
	v_fma_f32 v3, -v6, v3, v1
	v_cmp_lt_f32_e64 s[0:1], 0, v3
	v_cndmask_b32_e64 v3, v4, v6, s[0:1]
	v_mul_f32_e32 v4, 0x37800000, v3
	v_cndmask_b32_e32 v3, v3, v4, vcc
	v_cmp_class_f32_e32 vcc, v1, v0
	v_cndmask_b32_e32 v0, v3, v1, vcc
	v_cmp_nlt_f32_e32 vcc, 0, v11
	s_waitcnt vmcnt(0)
	v_mul_f32_e32 v0, v5, v0
	global_store_dword v2, v0, s[4:5] offset:4
	s_cbranch_vccnz .LBB1_17
; %bb.16:
	v_xor_b32_e32 v0, 0x80000000, v0
	global_store_dword v2, v0, s[4:5] offset:4
.LBB1_17:
	s_cmp_lt_i32 s21, s20
	s_cbranch_scc1 .LBB1_22
; %bb.18:
	s_mul_i32 s0, s20, 12
	s_ashr_i32 s1, s0, 31
	s_lshl_b64 s[0:1], s[0:1], 2
	s_add_u32 s4, s12, s0
	s_addc_u32 s5, s13, s1
	v_mov_b32_e32 v0, 0
	global_load_dword v5, v0, s[4:5] offset:12
	global_load_dword v7, v0, s[18:19] offset:4
	s_mov_b32 s17, 0x3f2aaaab
	s_mov_b32 s20, 0x3f317218
	v_mov_b32_e32 v6, 0x3e91f4c4
	v_mov_b32_e32 v2, 0x3ecccdef
	s_movk_i32 s8, 0x204
	s_mov_b32 s9, 0x42b17218
	v_mov_b32_e32 v3, 0x37000000
	s_mov_b32 s15, 0x3fb8aa3b
	s_mov_b32 s14, 0x7f800000
	;; [unrolled: 1-line block ×3, first 2 shown]
	v_mov_b32_e32 v4, 0x7f800000
	s_brev_b32 s21, -2
	v_mov_b32_e32 v1, 0x7fc00000
	s_mov_b32 s22, 0xf800000
	s_waitcnt vmcnt(1)
	v_frexp_mant_f32_e64 v11, |v5|
	v_cmp_eq_f32_e32 vcc, 1.0, v5
	v_cmp_gt_f32_e64 s[2:3], s17, v11
	v_cndmask_b32_e64 v10, 2.0, 1.0, vcc
	v_cvt_f64_f32_e64 v[8:9], |v5|
	v_cndmask_b32_e64 v12, 1.0, 2.0, s[2:3]
	v_mul_f32_e32 v14, 0.5, v10
	v_mul_f32_e32 v11, v11, v12
	v_trunc_f32_e32 v12, v14
	v_add_f32_e32 v15, 1.0, v11
	v_cmp_neq_f32_e64 s[0:1], v12, v14
	v_rcp_f32_e32 v14, v15
	v_frexp_exp_i32_f64_e32 v8, v[8:9]
	v_trunc_f32_e32 v13, v10
	v_cmp_eq_f32_e32 vcc, v13, v10
	v_add_f32_e32 v13, -1.0, v11
	v_add_f32_e32 v12, -1.0, v15
	v_sub_f32_e32 v11, v11, v12
	v_mul_f32_e32 v12, v13, v14
	v_mul_f32_e32 v16, v15, v12
	v_fma_f32 v15, v12, v15, -v16
	v_fmac_f32_e32 v15, v12, v11
	v_add_f32_e32 v11, v16, v15
	v_subbrev_co_u32_e64 v8, s[2:3], 0, v8, s[2:3]
	v_sub_f32_e32 v17, v13, v11
	v_sub_f32_e32 v16, v11, v16
	v_cvt_f32_i32_e32 v8, v8
	v_sub_f32_e32 v13, v13, v17
	v_sub_f32_e32 v15, v16, v15
	;; [unrolled: 1-line block ×3, first 2 shown]
	v_add_f32_e32 v11, v15, v11
	v_add_f32_e32 v11, v17, v11
	v_mul_f32_e32 v13, 0x3f317218, v8
	v_mul_f32_e32 v11, v14, v11
	v_fma_f32 v14, v8, s20, -v13
	v_add_f32_e32 v15, v12, v11
	v_fmac_f32_e32 v14, 0xb102e308, v8
	v_sub_f32_e32 v8, v15, v12
	v_mul_f32_e32 v12, v15, v15
	v_sub_f32_e32 v8, v11, v8
	v_add_f32_e32 v17, v13, v14
	v_fma_f32 v11, v15, v15, -v12
	v_add_f32_e32 v18, v8, v8
	v_sub_f32_e32 v13, v17, v13
	v_fmac_f32_e32 v11, v15, v18
	v_sub_f32_e32 v13, v14, v13
	v_add_f32_e32 v14, v12, v11
	v_fmac_f32_e32 v6, 0x3e76c4e1, v14
	v_sub_f32_e32 v12, v14, v12
	v_mul_f32_e32 v18, v15, v14
	v_fma_f32 v6, v14, v6, v2
	v_sub_f32_e32 v11, v11, v12
	v_fma_f32 v12, v14, v15, -v18
	v_ldexp_f32 v19, v8, 1
	v_fmac_f32_e32 v12, v14, v8
	v_mul_f32_e32 v8, v14, v6
	v_fmac_f32_e32 v12, v11, v15
	v_fma_f32 v14, v14, v6, -v8
	v_ldexp_f32 v16, v15, 1
	v_add_f32_e32 v15, v18, v12
	v_fmac_f32_e32 v14, v11, v6
	v_sub_f32_e32 v6, v15, v18
	v_add_f32_e32 v11, v8, v14
	v_sub_f32_e32 v6, v12, v6
	v_add_f32_e32 v12, 0x3f2aaaaa, v11
	v_sub_f32_e32 v8, v11, v8
	v_sub_f32_e32 v8, v14, v8
	v_add_f32_e32 v14, 0xbf2aaaaa, v12
	v_add_f32_e32 v8, 0x31739010, v8
	v_sub_f32_e32 v11, v11, v14
	v_add_f32_e32 v8, v8, v11
	v_add_f32_e32 v11, v12, v8
	v_sub_f32_e32 v12, v12, v11
	v_mul_f32_e32 v14, v15, v11
	v_add_f32_e32 v8, v8, v12
	v_fma_f32 v12, v15, v11, -v14
	v_fmac_f32_e32 v12, v15, v8
	v_fmac_f32_e32 v12, v6, v11
	v_add_f32_e32 v6, v14, v12
	v_sub_f32_e32 v8, v6, v14
	v_add_f32_e32 v11, v16, v6
	v_sub_f32_e32 v8, v12, v8
	v_sub_f32_e32 v12, v11, v16
	v_sub_f32_e32 v6, v6, v12
	v_add_f32_e32 v8, v19, v8
	v_add_f32_e32 v6, v8, v6
	;; [unrolled: 1-line block ×3, first 2 shown]
	v_sub_f32_e32 v11, v8, v11
	v_add_f32_e32 v12, v17, v8
	v_sub_f32_e32 v6, v6, v11
	v_sub_f32_e32 v11, v12, v17
	;; [unrolled: 1-line block ×5, first 2 shown]
	v_add_f32_e32 v11, v13, v6
	v_add_f32_e32 v8, v8, v14
	v_sub_f32_e32 v15, v11, v13
	v_add_f32_e32 v8, v11, v8
	v_sub_f32_e32 v14, v11, v15
	;; [unrolled: 2-line block ×3, first 2 shown]
	v_sub_f32_e32 v13, v13, v14
	v_sub_f32_e32 v12, v11, v12
	v_add_f32_e32 v6, v6, v13
	v_sub_f32_e32 v8, v8, v12
	v_add_f32_e32 v6, v6, v8
	v_add_f32_e32 v8, v11, v6
	v_sub_f32_e32 v11, v8, v11
	v_mul_f32_e32 v12, v10, v8
	v_sub_f32_e32 v6, v6, v11
	v_fma_f32 v8, v10, v8, -v12
	v_fmac_f32_e32 v8, v10, v6
	v_add_f32_e32 v6, v12, v8
	v_cmp_class_f32_e64 s[2:3], v12, s8
	v_sub_f32_e32 v10, v6, v12
	v_cndmask_b32_e64 v6, v6, v12, s[2:3]
	v_cmp_eq_f32_e64 s[2:3], s9, v6
	v_sub_f32_e32 v8, v8, v10
	v_cndmask_b32_e64 v10, 0, v3, s[2:3]
	v_sub_f32_e32 v11, v6, v10
	v_mul_f32_e32 v12, 0x3fb8aa3b, v11
	v_fma_f32 v13, v11, s15, -v12
	v_rndne_f32_e32 v14, v12
	v_fmac_f32_e32 v13, 0x32a5705f, v11
	v_sub_f32_e32 v12, v12, v14
	v_add_f32_e32 v12, v12, v13
	v_cvt_i32_f32_e32 v14, v14
	v_exp_f32_e32 v12, v12
	v_cmp_neq_f32_e64 s[2:3], |v6|, s14
	v_cndmask_b32_e64 v6, 0, v8, s[2:3]
	v_cmp_ngt_f32_e64 s[2:3], s16, v11
	v_ldexp_f32 v8, v12, v14
	v_cndmask_b32_e64 v8, 0, v8, s[2:3]
	v_cmp_nlt_f32_e64 s[2:3], s9, v11
	v_add_f32_e32 v6, v10, v6
	v_cndmask_b32_e64 v8, v4, v8, s[2:3]
	s_and_b64 s[0:1], vcc, s[0:1]
	v_fma_f32 v6, v8, v6, v8
	v_cmp_class_f32_e64 s[2:3], v8, s8
	v_cndmask_b32_e64 v9, 1.0, v5, s[0:1]
	v_cndmask_b32_e64 v6, v6, v8, s[2:3]
	v_bfi_b32 v6, s21, v6, v9
	v_cndmask_b32_e32 v8, v1, v6, vcc
	v_cmp_gt_f32_e32 vcc, 0, v5
	v_cndmask_b32_e64 v9, 0, v5, s[0:1]
	s_sub_i32 s0, s33, 20
	v_cndmask_b32_e32 v8, v6, v8, vcc
	v_cmp_class_f32_e64 s[2:3], v5, s8
	v_cmp_eq_f32_e32 vcc, 0, v5
	s_ashr_i32 s1, s0, 31
	v_cndmask_b32_e64 v6, v4, 0, vcc
	s_or_b64 vcc, vcc, s[2:3]
	s_lshl_b64 s[0:1], s[0:1], 2
	s_add_u32 s6, s12, s0
	s_addc_u32 s7, s13, s1
	v_bfi_b32 v9, s21, v6, v9
	global_load_dword v6, v0, s[6:7]
	v_cndmask_b32_e32 v8, v8, v9, vcc
	v_cmp_o_f32_e32 vcc, v5, v5
	v_cndmask_b32_e32 v5, v1, v8, vcc
	v_mov_b32_e32 v10, 0x3e91f4c4
	s_waitcnt vmcnt(0)
	v_frexp_mant_f32_e64 v12, |v6|
	v_cmp_eq_f32_e32 vcc, 1.0, v6
	v_cmp_gt_f32_e64 s[2:3], s17, v12
	v_cndmask_b32_e64 v11, 2.0, 1.0, vcc
	v_cvt_f64_f32_e64 v[8:9], |v6|
	v_cndmask_b32_e64 v13, 1.0, 2.0, s[2:3]
	v_mul_f32_e32 v15, 0.5, v11
	v_mul_f32_e32 v12, v12, v13
	v_trunc_f32_e32 v13, v15
	v_add_f32_e32 v16, 1.0, v12
	v_cmp_neq_f32_e64 s[0:1], v13, v15
	v_rcp_f32_e32 v13, v16
	v_frexp_exp_i32_f64_e32 v8, v[8:9]
	v_trunc_f32_e32 v14, v11
	v_cmp_eq_f32_e32 vcc, v14, v11
	v_add_f32_e32 v14, -1.0, v12
	v_add_f32_e32 v15, -1.0, v16
	v_sub_f32_e32 v9, v12, v15
	v_mul_f32_e32 v12, v14, v13
	v_mul_f32_e32 v15, v16, v12
	v_fma_f32 v16, v12, v16, -v15
	v_fmac_f32_e32 v16, v12, v9
	v_add_f32_e32 v9, v15, v16
	v_subbrev_co_u32_e64 v8, s[2:3], 0, v8, s[2:3]
	v_sub_f32_e32 v17, v14, v9
	v_sub_f32_e32 v15, v9, v15
	v_cvt_f32_i32_e32 v8, v8
	v_sub_f32_e32 v14, v14, v17
	v_sub_f32_e32 v15, v15, v16
	;; [unrolled: 1-line block ×3, first 2 shown]
	v_add_f32_e32 v9, v15, v9
	v_add_f32_e32 v9, v17, v9
	v_mul_f32_e32 v14, 0x3f317218, v8
	v_mul_f32_e32 v9, v13, v9
	v_fma_f32 v13, v8, s20, -v14
	v_add_f32_e32 v15, v12, v9
	v_fmac_f32_e32 v13, 0xb102e308, v8
	v_sub_f32_e32 v8, v15, v12
	v_mul_f32_e32 v12, v15, v15
	v_sub_f32_e32 v8, v9, v8
	v_add_f32_e32 v17, v14, v13
	v_fma_f32 v9, v15, v15, -v12
	v_add_f32_e32 v18, v8, v8
	v_sub_f32_e32 v14, v17, v14
	v_fmac_f32_e32 v9, v15, v18
	v_sub_f32_e32 v13, v13, v14
	v_add_f32_e32 v14, v12, v9
	v_fmac_f32_e32 v10, 0x3e76c4e1, v14
	v_sub_f32_e32 v12, v14, v12
	v_mul_f32_e32 v18, v15, v14
	v_fma_f32 v10, v14, v10, v2
	v_sub_f32_e32 v9, v9, v12
	v_fma_f32 v12, v14, v15, -v18
	v_ldexp_f32 v19, v8, 1
	v_fmac_f32_e32 v12, v14, v8
	v_mul_f32_e32 v8, v14, v10
	v_fmac_f32_e32 v12, v9, v15
	v_fma_f32 v14, v14, v10, -v8
	v_ldexp_f32 v16, v15, 1
	v_add_f32_e32 v15, v18, v12
	v_fmac_f32_e32 v14, v9, v10
	v_sub_f32_e32 v9, v15, v18
	v_add_f32_e32 v10, v8, v14
	v_sub_f32_e32 v9, v12, v9
	v_add_f32_e32 v12, 0x3f2aaaaa, v10
	v_sub_f32_e32 v8, v10, v8
	v_sub_f32_e32 v8, v14, v8
	v_add_f32_e32 v14, 0xbf2aaaaa, v12
	v_add_f32_e32 v8, 0x31739010, v8
	v_sub_f32_e32 v10, v10, v14
	v_add_f32_e32 v8, v8, v10
	v_add_f32_e32 v10, v12, v8
	v_sub_f32_e32 v12, v12, v10
	v_mul_f32_e32 v14, v15, v10
	v_add_f32_e32 v8, v8, v12
	v_fma_f32 v12, v15, v10, -v14
	v_fmac_f32_e32 v12, v15, v8
	v_fmac_f32_e32 v12, v9, v10
	v_add_f32_e32 v8, v14, v12
	v_sub_f32_e32 v9, v8, v14
	v_add_f32_e32 v10, v16, v8
	v_sub_f32_e32 v9, v12, v9
	v_sub_f32_e32 v12, v10, v16
	;; [unrolled: 1-line block ×3, first 2 shown]
	v_add_f32_e32 v9, v19, v9
	v_add_f32_e32 v8, v9, v8
	;; [unrolled: 1-line block ×3, first 2 shown]
	v_sub_f32_e32 v10, v9, v10
	v_add_f32_e32 v12, v17, v9
	v_sub_f32_e32 v8, v8, v10
	v_sub_f32_e32 v10, v12, v17
	;; [unrolled: 1-line block ×5, first 2 shown]
	v_add_f32_e32 v10, v13, v8
	v_add_f32_e32 v9, v9, v14
	v_sub_f32_e32 v15, v10, v13
	v_add_f32_e32 v9, v10, v9
	v_sub_f32_e32 v14, v10, v15
	;; [unrolled: 2-line block ×3, first 2 shown]
	v_sub_f32_e32 v13, v13, v14
	v_sub_f32_e32 v12, v10, v12
	v_add_f32_e32 v8, v8, v13
	v_sub_f32_e32 v9, v9, v12
	v_add_f32_e32 v8, v8, v9
	v_add_f32_e32 v9, v10, v8
	v_sub_f32_e32 v10, v9, v10
	v_mul_f32_e32 v12, v11, v9
	v_sub_f32_e32 v8, v8, v10
	v_fma_f32 v9, v11, v9, -v12
	v_fmac_f32_e32 v9, v11, v8
	v_add_f32_e32 v8, v12, v9
	v_cmp_class_f32_e64 s[2:3], v12, s8
	v_sub_f32_e32 v10, v8, v12
	v_cndmask_b32_e64 v8, v8, v12, s[2:3]
	v_cmp_eq_f32_e64 s[2:3], s9, v8
	v_sub_f32_e32 v9, v9, v10
	v_cndmask_b32_e64 v10, 0, v3, s[2:3]
	v_sub_f32_e32 v11, v8, v10
	v_mul_f32_e32 v12, 0x3fb8aa3b, v11
	v_fma_f32 v13, v11, s15, -v12
	v_rndne_f32_e32 v14, v12
	v_fmac_f32_e32 v13, 0x32a5705f, v11
	v_sub_f32_e32 v12, v12, v14
	v_add_f32_e32 v12, v12, v13
	v_cvt_i32_f32_e32 v14, v14
	v_exp_f32_e32 v12, v12
	v_cmp_neq_f32_e64 s[2:3], |v8|, s14
	v_cndmask_b32_e64 v8, 0, v9, s[2:3]
	v_cmp_ngt_f32_e64 s[2:3], s16, v11
	v_ldexp_f32 v9, v12, v14
	v_cndmask_b32_e64 v9, 0, v9, s[2:3]
	v_cmp_nlt_f32_e64 s[2:3], s9, v11
	v_add_f32_e32 v8, v10, v8
	v_cndmask_b32_e64 v9, v4, v9, s[2:3]
	v_fma_f32 v8, v9, v8, v9
	v_cmp_class_f32_e64 s[2:3], v9, s8
	s_and_b64 s[0:1], vcc, s[0:1]
	v_cndmask_b32_e64 v8, v8, v9, s[2:3]
	v_cndmask_b32_e64 v9, 1.0, v6, s[0:1]
	v_bfi_b32 v8, s21, v8, v9
	v_cndmask_b32_e32 v9, v1, v8, vcc
	v_cmp_gt_f32_e32 vcc, 0, v6
	v_cndmask_b32_e32 v8, v8, v9, vcc
	v_cmp_eq_f32_e32 vcc, 0, v6
	v_cmp_class_f32_e64 s[2:3], v6, s8
	v_cndmask_b32_e64 v9, v4, 0, vcc
	v_cndmask_b32_e64 v10, 0, v6, s[0:1]
	v_bfi_b32 v9, s21, v9, v10
	s_or_b64 vcc, vcc, s[2:3]
	v_cndmask_b32_e32 v8, v8, v9, vcc
	v_cmp_o_f32_e32 vcc, v6, v6
	v_cndmask_b32_e32 v6, v1, v8, vcc
	v_add_f32_e32 v5, v5, v6
	v_mul_f32_e32 v6, 0x4f800000, v5
	v_cmp_gt_f32_e32 vcc, s22, v5
	v_cndmask_b32_e32 v6, v5, v6, vcc
	v_sqrt_f32_e32 v5, v6
	v_add_u32_e32 v8, -1, v5
	v_fma_f32 v9, -v8, v5, v6
	v_cmp_ge_f32_e64 s[0:1], 0, v9
	v_add_u32_e32 v9, 1, v5
	v_cndmask_b32_e64 v8, v5, v8, s[0:1]
	v_fma_f32 v5, -v9, v5, v6
	v_cmp_lt_f32_e64 s[0:1], 0, v5
	v_cndmask_b32_e64 v5, v8, v9, s[0:1]
	v_mul_f32_e32 v8, 0x37800000, v5
	v_cndmask_b32_e32 v8, v5, v8, vcc
	v_mov_b32_e32 v5, 0x260
	v_cmp_class_f32_e32 vcc, v6, v5
	v_cndmask_b32_e32 v6, v8, v6, vcc
	v_mul_f32_e32 v6, v7, v6
	global_store_dword v0, v6, s[4:5] offset:4
	global_load_dword v8, v0, s[6:7]
	v_mov_b32_e32 v7, 0x3e91f4c4
	s_waitcnt vmcnt(0)
	v_cmp_ngt_f32_e32 vcc, 0, v8
	s_cbranch_vccnz .LBB1_20
; %bb.19:
	v_xor_b32_e32 v6, 0x80000000, v6
	global_store_dword v0, v6, s[4:5] offset:4
.LBB1_20:
	s_mul_i32 s6, s11, s10
	s_not_b32 s0, s10
	s_add_i32 s0, s0, s6
	s_mul_i32 s0, s0, 12
	s_ashr_i32 s1, s0, 31
	s_lshl_b64 s[0:1], s[0:1], 2
	s_add_u32 s0, s12, s0
	s_addc_u32 s1, s13, s1
	global_load_dword v6, v0, s[0:1] offset:12
	v_mov_b32_e32 v10, 0x3e91f4c4
	s_mul_i32 s10, s6, 12
	s_waitcnt vmcnt(0)
	v_frexp_mant_f32_e64 v8, |v6|
	v_cmp_eq_f32_e32 vcc, 1.0, v6
	v_cmp_gt_f32_e64 s[2:3], s17, v8
	v_cndmask_b32_e64 v9, 2.0, 1.0, vcc
	v_cvt_f64_f32_e64 v[11:12], |v6|
	v_cndmask_b32_e64 v14, 1.0, 2.0, s[2:3]
	v_mul_f32_e32 v16, 0.5, v9
	v_mul_f32_e32 v8, v8, v14
	v_trunc_f32_e32 v14, v16
	v_add_f32_e32 v17, 1.0, v8
	v_trunc_f32_e32 v15, v9
	v_cmp_neq_f32_e64 s[4:5], v14, v16
	v_rcp_f32_e32 v16, v17
	v_cmp_eq_f32_e64 s[0:1], v15, v9
	v_frexp_exp_i32_f64_e32 v12, v[11:12]
	v_cmp_eq_f32_e32 vcc, 0, v6
	v_add_f32_e32 v14, -1.0, v17
	s_and_b64 s[4:5], s[0:1], s[4:5]
	v_cndmask_b32_e64 v13, v4, 0, vcc
	v_add_f32_e32 v15, -1.0, v8
	v_sub_f32_e32 v14, v8, v14
	v_cndmask_b32_e64 v8, 0, v6, s[4:5]
	v_bfi_b32 v8, s21, v13, v8
	v_mul_f32_e32 v13, v15, v16
	v_mul_f32_e32 v18, v17, v13
	v_fma_f32 v17, v13, v17, -v18
	v_fmac_f32_e32 v17, v13, v14
	v_add_f32_e32 v14, v18, v17
	v_subbrev_co_u32_e64 v12, s[2:3], 0, v12, s[2:3]
	v_sub_f32_e32 v19, v15, v14
	v_sub_f32_e32 v18, v14, v18
	v_cvt_f32_i32_e32 v12, v12
	v_sub_f32_e32 v15, v15, v19
	v_sub_f32_e32 v17, v18, v17
	;; [unrolled: 1-line block ×3, first 2 shown]
	v_add_f32_e32 v14, v17, v14
	v_add_f32_e32 v14, v19, v14
	v_mul_f32_e32 v15, 0x3f317218, v12
	v_mul_f32_e32 v14, v16, v14
	v_fma_f32 v16, v12, s20, -v15
	v_add_f32_e32 v17, v13, v14
	v_fmac_f32_e32 v16, 0xb102e308, v12
	v_sub_f32_e32 v12, v17, v13
	v_mul_f32_e32 v13, v17, v17
	v_sub_f32_e32 v12, v14, v12
	v_add_f32_e32 v18, v15, v16
	v_fma_f32 v14, v17, v17, -v13
	v_add_f32_e32 v19, v12, v12
	v_sub_f32_e32 v15, v18, v15
	v_fmac_f32_e32 v14, v17, v19
	v_sub_f32_e32 v15, v16, v15
	v_add_f32_e32 v16, v13, v14
	v_fmac_f32_e32 v10, 0x3e76c4e1, v16
	v_sub_f32_e32 v13, v16, v13
	v_mul_f32_e32 v19, v17, v16
	v_fma_f32 v10, v16, v10, v2
	v_sub_f32_e32 v13, v14, v13
	v_fma_f32 v14, v16, v17, -v19
	v_mul_f32_e32 v20, v16, v10
	v_fmac_f32_e32 v14, v16, v12
	v_fma_f32 v16, v16, v10, -v20
	v_fmac_f32_e32 v16, v13, v10
	v_add_f32_e32 v10, v20, v16
	v_fmac_f32_e32 v14, v13, v17
	v_sub_f32_e32 v13, v10, v20
	v_sub_f32_e32 v13, v16, v13
	v_add_f32_e32 v16, 0x3f2aaaaa, v10
	v_add_f32_e32 v20, 0xbf2aaaaa, v16
	v_sub_f32_e32 v10, v10, v20
	v_add_f32_e32 v13, 0x31739010, v13
	v_add_f32_e32 v10, v13, v10
	;; [unrolled: 1-line block ×3, first 2 shown]
	v_sub_f32_e32 v16, v16, v13
	v_add_f32_e32 v10, v10, v16
	v_add_f32_e32 v16, v19, v14
	v_mul_f32_e32 v20, v16, v13
	v_fma_f32 v21, v16, v13, -v20
	v_fmac_f32_e32 v21, v16, v10
	v_sub_f32_e32 v10, v16, v19
	v_sub_f32_e32 v10, v14, v10
	v_fmac_f32_e32 v21, v10, v13
	v_ldexp_f32 v16, v17, 1
	v_add_f32_e32 v10, v20, v21
	v_sub_f32_e32 v13, v10, v20
	v_add_f32_e32 v14, v16, v10
	v_ldexp_f32 v12, v12, 1
	v_sub_f32_e32 v13, v21, v13
	v_sub_f32_e32 v16, v14, v16
	;; [unrolled: 1-line block ×3, first 2 shown]
	v_add_f32_e32 v12, v12, v13
	v_add_f32_e32 v10, v12, v10
	;; [unrolled: 1-line block ×3, first 2 shown]
	v_sub_f32_e32 v13, v12, v14
	v_add_f32_e32 v14, v18, v12
	v_sub_f32_e32 v10, v10, v13
	v_sub_f32_e32 v13, v14, v18
	;; [unrolled: 1-line block ×5, first 2 shown]
	v_add_f32_e32 v13, v15, v10
	v_add_f32_e32 v12, v12, v16
	v_sub_f32_e32 v17, v13, v15
	v_add_f32_e32 v12, v13, v12
	v_sub_f32_e32 v16, v13, v17
	;; [unrolled: 2-line block ×3, first 2 shown]
	v_sub_f32_e32 v15, v15, v16
	v_sub_f32_e32 v14, v13, v14
	v_add_f32_e32 v10, v10, v15
	v_sub_f32_e32 v12, v12, v14
	v_add_f32_e32 v10, v10, v12
	v_add_f32_e32 v12, v13, v10
	v_sub_f32_e32 v13, v12, v13
	v_mul_f32_e32 v14, v9, v12
	s_sub_i32 s2, s10, 20
	v_sub_f32_e32 v10, v10, v13
	v_fma_f32 v12, v9, v12, -v14
	s_ashr_i32 s3, s2, 31
	v_fmac_f32_e32 v12, v9, v10
	v_cndmask_b32_e64 v11, 1.0, v6, s[4:5]
	s_lshl_b64 s[4:5], s[2:3], 2
	v_add_f32_e32 v9, v14, v12
	v_cmp_class_f32_e64 s[2:3], v14, s8
	v_sub_f32_e32 v10, v9, v14
	v_cndmask_b32_e64 v9, v9, v14, s[2:3]
	v_cmp_eq_f32_e64 s[2:3], s9, v9
	v_sub_f32_e32 v10, v12, v10
	v_cndmask_b32_e64 v12, 0, v3, s[2:3]
	v_sub_f32_e32 v13, v9, v12
	v_mul_f32_e32 v14, 0x3fb8aa3b, v13
	v_fma_f32 v15, v13, s15, -v14
	v_rndne_f32_e32 v16, v14
	v_fmac_f32_e32 v15, 0x32a5705f, v13
	v_sub_f32_e32 v14, v14, v16
	v_add_f32_e32 v14, v14, v15
	v_cvt_i32_f32_e32 v16, v16
	v_exp_f32_e32 v14, v14
	v_cmp_neq_f32_e64 s[2:3], |v9|, s14
	v_cndmask_b32_e64 v9, 0, v10, s[2:3]
	v_cmp_ngt_f32_e64 s[2:3], s16, v13
	v_ldexp_f32 v10, v14, v16
	v_cndmask_b32_e64 v10, 0, v10, s[2:3]
	v_cmp_nlt_f32_e64 s[2:3], s9, v13
	v_add_f32_e32 v9, v12, v9
	v_cndmask_b32_e64 v10, v4, v10, s[2:3]
	v_fma_f32 v9, v10, v9, v10
	v_cmp_class_f32_e64 s[2:3], v10, s8
	v_cndmask_b32_e64 v9, v9, v10, s[2:3]
	v_cmp_class_f32_e64 s[6:7], v6, s8
	v_bfi_b32 v9, s21, v9, v11
	v_cndmask_b32_e64 v10, v1, v9, s[0:1]
	v_cmp_gt_f32_e64 s[0:1], 0, v6
	s_or_b64 vcc, vcc, s[6:7]
	v_cndmask_b32_e64 v10, v9, v10, s[0:1]
	s_add_u32 s0, s12, s4
	s_addc_u32 s1, s13, s5
	s_nop 0
	global_load_dword v9, v0, s[0:1]
	s_waitcnt vmcnt(0)
	v_frexp_mant_f32_e64 v12, |v9|
	v_cmp_eq_f32_e64 s[0:1], 1.0, v9
	v_cmp_gt_f32_e64 s[4:5], s17, v12
	v_cndmask_b32_e64 v11, 2.0, 1.0, s[0:1]
	v_cndmask_b32_e64 v16, 1.0, 2.0, s[4:5]
	v_cvt_f64_f32_e64 v[13:14], |v9|
	v_mul_f32_e32 v18, 0.5, v11
	v_mul_f32_e32 v12, v12, v16
	v_trunc_f32_e32 v16, v18
	v_add_f32_e32 v19, 1.0, v12
	v_trunc_f32_e32 v17, v11
	v_cmp_neq_f32_e64 s[6:7], v16, v18
	v_rcp_f32_e32 v18, v19
	v_cmp_eq_f32_e64 s[2:3], v17, v11
	v_cmp_eq_f32_e64 s[0:1], 0, v9
	v_add_f32_e32 v16, -1.0, v19
	v_frexp_exp_i32_f64_e32 v14, v[13:14]
	s_and_b64 s[6:7], s[2:3], s[6:7]
	v_cndmask_b32_e64 v15, v4, 0, s[0:1]
	v_add_f32_e32 v17, -1.0, v12
	v_sub_f32_e32 v16, v12, v16
	v_cndmask_b32_e64 v12, 0, v9, s[6:7]
	v_bfi_b32 v12, s21, v15, v12
	v_mul_f32_e32 v15, v17, v18
	v_mul_f32_e32 v20, v19, v15
	v_fma_f32 v19, v15, v19, -v20
	v_fmac_f32_e32 v19, v15, v16
	v_add_f32_e32 v16, v20, v19
	v_sub_f32_e32 v20, v16, v20
	v_sub_f32_e32 v19, v20, v19
	;; [unrolled: 1-line block ×3, first 2 shown]
	v_subbrev_co_u32_e64 v14, s[4:5], 0, v14, s[4:5]
	v_sub_f32_e32 v17, v17, v20
	v_cvt_f32_i32_e32 v14, v14
	v_sub_f32_e32 v16, v17, v16
	v_add_f32_e32 v16, v19, v16
	v_add_f32_e32 v16, v20, v16
	v_mul_f32_e32 v17, 0x3f317218, v14
	v_mul_f32_e32 v16, v18, v16
	v_fma_f32 v18, v14, s20, -v17
	v_add_f32_e32 v19, v15, v16
	v_fmac_f32_e32 v18, 0xb102e308, v14
	v_sub_f32_e32 v14, v19, v15
	v_sub_f32_e32 v14, v16, v14
	v_add_f32_e32 v16, v17, v18
	v_mul_f32_e32 v15, v19, v19
	v_sub_f32_e32 v17, v16, v17
	v_sub_f32_e32 v17, v18, v17
	v_fma_f32 v18, v19, v19, -v15
	v_add_f32_e32 v20, v14, v14
	v_fmac_f32_e32 v18, v19, v20
	v_add_f32_e32 v20, v15, v18
	v_fmac_f32_e32 v7, 0x3e76c4e1, v20
	v_fmac_f32_e32 v2, v20, v7
	v_sub_f32_e32 v7, v20, v15
	v_mul_f32_e32 v15, v19, v20
	v_sub_f32_e32 v7, v18, v7
	v_fma_f32 v18, v20, v19, -v15
	v_mul_f32_e32 v21, v20, v2
	v_fmac_f32_e32 v18, v20, v14
	v_fma_f32 v20, v20, v2, -v21
	v_fmac_f32_e32 v20, v7, v2
	v_add_f32_e32 v2, v21, v20
	v_fmac_f32_e32 v18, v7, v19
	v_sub_f32_e32 v7, v2, v21
	v_sub_f32_e32 v7, v20, v7
	v_add_f32_e32 v20, 0x3f2aaaaa, v2
	v_add_f32_e32 v21, 0xbf2aaaaa, v20
	v_sub_f32_e32 v2, v2, v21
	v_add_f32_e32 v7, 0x31739010, v7
	v_add_f32_e32 v2, v7, v2
	;; [unrolled: 1-line block ×3, first 2 shown]
	v_sub_f32_e32 v20, v20, v7
	v_add_f32_e32 v2, v2, v20
	v_add_f32_e32 v20, v15, v18
	v_mul_f32_e32 v21, v20, v7
	v_fma_f32 v22, v20, v7, -v21
	v_fmac_f32_e32 v22, v20, v2
	v_sub_f32_e32 v2, v20, v15
	v_sub_f32_e32 v2, v18, v2
	v_fmac_f32_e32 v22, v2, v7
	v_ldexp_f32 v15, v19, 1
	v_add_f32_e32 v2, v21, v22
	v_sub_f32_e32 v7, v2, v21
	v_add_f32_e32 v18, v15, v2
	v_ldexp_f32 v14, v14, 1
	v_sub_f32_e32 v7, v22, v7
	v_sub_f32_e32 v15, v18, v15
	v_sub_f32_e32 v2, v2, v15
	v_add_f32_e32 v7, v14, v7
	v_add_f32_e32 v2, v7, v2
	;; [unrolled: 1-line block ×3, first 2 shown]
	v_sub_f32_e32 v14, v7, v18
	v_add_f32_e32 v15, v16, v7
	v_sub_f32_e32 v2, v2, v14
	v_sub_f32_e32 v14, v15, v16
	;; [unrolled: 1-line block ×5, first 2 shown]
	v_add_f32_e32 v14, v17, v2
	v_add_f32_e32 v7, v7, v16
	v_sub_f32_e32 v18, v14, v17
	v_add_f32_e32 v7, v14, v7
	v_sub_f32_e32 v16, v14, v18
	;; [unrolled: 2-line block ×3, first 2 shown]
	v_sub_f32_e32 v16, v17, v16
	v_sub_f32_e32 v15, v14, v15
	v_add_f32_e32 v2, v2, v16
	v_sub_f32_e32 v7, v7, v15
	v_add_f32_e32 v2, v2, v7
	v_add_f32_e32 v7, v14, v2
	v_sub_f32_e32 v14, v7, v14
	v_mul_f32_e32 v15, v11, v7
	v_sub_f32_e32 v2, v2, v14
	v_fma_f32 v7, v11, v7, -v15
	s_mov_b32 s4, s11
	s_ashr_i32 s5, s11, 31
	v_fmac_f32_e32 v7, v11, v2
	v_cndmask_b32_e64 v13, 1.0, v9, s[6:7]
	s_lshl_b64 s[6:7], s[4:5], 2
	v_add_f32_e32 v2, v15, v7
	v_cmp_class_f32_e64 s[4:5], v15, s8
	v_sub_f32_e32 v11, v2, v15
	v_cndmask_b32_e64 v2, v2, v15, s[4:5]
	v_cmp_eq_f32_e64 s[4:5], s9, v2
	v_cndmask_b32_e64 v3, 0, v3, s[4:5]
	v_sub_f32_e32 v7, v7, v11
	v_sub_f32_e32 v11, v2, v3
	v_mul_f32_e32 v14, 0x3fb8aa3b, v11
	v_fma_f32 v15, v11, s15, -v14
	v_rndne_f32_e32 v16, v14
	v_fmac_f32_e32 v15, 0x32a5705f, v11
	v_sub_f32_e32 v14, v14, v16
	v_add_f32_e32 v14, v14, v15
	v_cvt_i32_f32_e32 v16, v16
	v_exp_f32_e32 v14, v14
	v_cmp_neq_f32_e64 s[4:5], |v2|, s14
	v_cndmask_b32_e64 v2, 0, v7, s[4:5]
	v_add_f32_e32 v2, v3, v2
	v_ldexp_f32 v3, v14, v16
	v_cmp_ngt_f32_e64 s[4:5], s16, v11
	v_cndmask_b32_e64 v3, 0, v3, s[4:5]
	v_cmp_nlt_f32_e64 s[4:5], s9, v11
	v_cndmask_b32_e64 v3, v4, v3, s[4:5]
	v_fma_f32 v2, v3, v2, v3
	v_cmp_class_f32_e64 s[4:5], v3, s8
	v_cndmask_b32_e64 v2, v2, v3, s[4:5]
	v_cmp_class_f32_e64 s[24:25], v9, s8
	v_bfi_b32 v2, s21, v2, v13
	v_cndmask_b32_e64 v3, v1, v2, s[2:3]
	v_cmp_gt_f32_e64 s[2:3], 0, v9
	s_or_b64 s[0:1], s[0:1], s[24:25]
	v_cndmask_b32_e64 v2, v2, v3, s[2:3]
	s_add_u32 s2, s18, s6
	s_addc_u32 s3, s19, s7
	v_cndmask_b32_e32 v4, v10, v8, vcc
	global_load_dword v3, v0, s[2:3]
	v_cmp_o_f32_e32 vcc, v6, v6
	v_cndmask_b32_e64 v2, v2, v12, s[0:1]
	v_cmp_o_f32_e64 s[0:1], v9, v9
	v_cndmask_b32_e32 v4, v1, v4, vcc
	v_cndmask_b32_e64 v1, v1, v2, s[0:1]
	s_add_i32 s0, s10, -12
	v_add_f32_e32 v1, v4, v1
	s_ashr_i32 s1, s0, 31
	v_mul_f32_e32 v2, 0x4f800000, v1
	s_lshl_b64 s[2:3], s[0:1], 2
	v_cmp_gt_f32_e64 s[0:1], s22, v1
	v_cndmask_b32_e64 v1, v1, v2, s[0:1]
	v_sqrt_f32_e32 v2, v1
	s_add_u32 s4, s12, s2
	s_addc_u32 s5, s13, s3
	v_cmp_ngt_f32_e32 vcc, 0, v9
	v_add_u32_e32 v4, -1, v2
	v_add_u32_e32 v6, 1, v2
	v_fma_f32 v7, -v4, v2, v1
	v_fma_f32 v8, -v6, v2, v1
	v_cmp_ge_f32_e64 s[2:3], 0, v7
	v_cndmask_b32_e64 v2, v2, v4, s[2:3]
	v_cmp_lt_f32_e64 s[2:3], 0, v8
	v_cndmask_b32_e64 v2, v2, v6, s[2:3]
	v_mul_f32_e32 v4, 0x37800000, v2
	v_cndmask_b32_e64 v2, v2, v4, s[0:1]
	v_cmp_class_f32_e64 s[0:1], v1, v5
	v_cndmask_b32_e64 v1, v2, v1, s[0:1]
	s_waitcnt vmcnt(0)
	v_mul_f32_e32 v1, v3, v1
	global_store_dword v0, v1, s[4:5] offset:4
	s_cbranch_vccnz .LBB1_22
; %bb.21:
	v_xor_b32_e32 v0, 0x80000000, v1
	v_mov_b32_e32 v1, 0
	global_store_dword v1, v0, s[4:5] offset:4
.LBB1_22:
	s_endpgm
	.section	.rodata,"a",@progbits
	.p2align	6, 0x0
	.amdhsa_kernel _Z7kernel2PfPKfS1_S1_S1_iiiiii
		.amdhsa_group_segment_fixed_size 0
		.amdhsa_private_segment_fixed_size 0
		.amdhsa_kernarg_size 64
		.amdhsa_user_sgpr_count 6
		.amdhsa_user_sgpr_private_segment_buffer 1
		.amdhsa_user_sgpr_dispatch_ptr 0
		.amdhsa_user_sgpr_queue_ptr 0
		.amdhsa_user_sgpr_kernarg_segment_ptr 1
		.amdhsa_user_sgpr_dispatch_id 0
		.amdhsa_user_sgpr_flat_scratch_init 0
		.amdhsa_user_sgpr_private_segment_size 0
		.amdhsa_uses_dynamic_stack 0
		.amdhsa_system_sgpr_private_segment_wavefront_offset 0
		.amdhsa_system_sgpr_workgroup_id_x 1
		.amdhsa_system_sgpr_workgroup_id_y 0
		.amdhsa_system_sgpr_workgroup_id_z 0
		.amdhsa_system_sgpr_workgroup_info 0
		.amdhsa_system_vgpr_workitem_id 0
		.amdhsa_next_free_vgpr 23
		.amdhsa_next_free_sgpr 46
		.amdhsa_reserve_vcc 1
		.amdhsa_reserve_flat_scratch 0
		.amdhsa_float_round_mode_32 0
		.amdhsa_float_round_mode_16_64 0
		.amdhsa_float_denorm_mode_32 3
		.amdhsa_float_denorm_mode_16_64 3
		.amdhsa_dx10_clamp 1
		.amdhsa_ieee_mode 1
		.amdhsa_fp16_overflow 0
		.amdhsa_exception_fp_ieee_invalid_op 0
		.amdhsa_exception_fp_denorm_src 0
		.amdhsa_exception_fp_ieee_div_zero 0
		.amdhsa_exception_fp_ieee_overflow 0
		.amdhsa_exception_fp_ieee_underflow 0
		.amdhsa_exception_fp_ieee_inexact 0
		.amdhsa_exception_int_div_zero 0
	.end_amdhsa_kernel
	.text
.Lfunc_end1:
	.size	_Z7kernel2PfPKfS1_S1_S1_iiiiii, .Lfunc_end1-_Z7kernel2PfPKfS1_S1_S1_iiiiii
                                        ; -- End function
	.set _Z7kernel2PfPKfS1_S1_S1_iiiiii.num_vgpr, 23
	.set _Z7kernel2PfPKfS1_S1_S1_iiiiii.num_agpr, 0
	.set _Z7kernel2PfPKfS1_S1_S1_iiiiii.numbered_sgpr, 46
	.set _Z7kernel2PfPKfS1_S1_S1_iiiiii.num_named_barrier, 0
	.set _Z7kernel2PfPKfS1_S1_S1_iiiiii.private_seg_size, 0
	.set _Z7kernel2PfPKfS1_S1_S1_iiiiii.uses_vcc, 1
	.set _Z7kernel2PfPKfS1_S1_S1_iiiiii.uses_flat_scratch, 0
	.set _Z7kernel2PfPKfS1_S1_S1_iiiiii.has_dyn_sized_stack, 0
	.set _Z7kernel2PfPKfS1_S1_S1_iiiiii.has_recursion, 0
	.set _Z7kernel2PfPKfS1_S1_S1_iiiiii.has_indirect_call, 0
	.section	.AMDGPU.csdata,"",@progbits
; Kernel info:
; codeLenInByte = 16056
; TotalNumSgprs: 50
; NumVgprs: 23
; ScratchSize: 0
; MemoryBound: 0
; FloatMode: 240
; IeeeMode: 1
; LDSByteSize: 0 bytes/workgroup (compile time only)
; SGPRBlocks: 6
; VGPRBlocks: 5
; NumSGPRsForWavesPerEU: 50
; NumVGPRsForWavesPerEU: 23
; Occupancy: 10
; WaveLimiterHint : 0
; COMPUTE_PGM_RSRC2:SCRATCH_EN: 0
; COMPUTE_PGM_RSRC2:USER_SGPR: 6
; COMPUTE_PGM_RSRC2:TRAP_HANDLER: 0
; COMPUTE_PGM_RSRC2:TGID_X_EN: 1
; COMPUTE_PGM_RSRC2:TGID_Y_EN: 0
; COMPUTE_PGM_RSRC2:TGID_Z_EN: 0
; COMPUTE_PGM_RSRC2:TIDIG_COMP_CNT: 0
	.text
	.protected	_Z7kernel3PfS_iiiii     ; -- Begin function _Z7kernel3PfS_iiiii
	.globl	_Z7kernel3PfS_iiiii
	.p2align	8
	.type	_Z7kernel3PfS_iiiii,@function
_Z7kernel3PfS_iiiii:                    ; @_Z7kernel3PfS_iiiii
; %bb.0:
	s_load_dword s8, s[4:5], 0x34
	s_load_dwordx4 s[0:3], s[4:5], 0x10
	s_waitcnt lgkmcnt(0)
	s_lshr_b32 s9, s8, 16
	s_and_b32 s8, s8, 0xffff
	s_mul_i32 s6, s6, s8
	s_add_i32 s6, s6, s1
	s_mul_i32 s1, s7, s9
	s_add_i32 s1, s1, s0
	v_add_u32_e32 v0, s6, v0
	v_add_u32_e32 v1, s1, v1
	v_cmp_ge_i32_e32 vcc, s2, v1
	v_cmp_ge_i32_e64 s[0:1], s3, v0
	s_and_b64 s[0:1], s[0:1], vcc
	s_and_saveexec_b64 s[2:3], s[0:1]
	s_cbranch_execz .LBB2_5
; %bb.1:
	s_load_dword s6, s[4:5], 0x20
	s_load_dwordx2 s[0:1], s[4:5], 0x0
	v_add_u32_e32 v1, -1, v1
	s_waitcnt lgkmcnt(0)
	v_mad_u64_u32 v[2:3], s[2:3], v1, s6, v[0:1]
	v_mov_b32_e32 v5, s1
	v_add_u32_e32 v1, -1, v2
	v_mul_lo_u32 v0, v1, 12
	v_add_u32_e32 v1, s6, v1
	v_mul_lo_u32 v3, v1, 12
	v_ashrrev_i32_e32 v1, 31, v0
	v_lshlrev_b64 v[0:1], 2, v[0:1]
	v_ashrrev_i32_e32 v4, 31, v3
	v_lshlrev_b64 v[3:4], 2, v[3:4]
	v_add_co_u32_e32 v0, vcc, s0, v0
	v_addc_co_u32_e32 v1, vcc, v5, v1, vcc
	v_add_co_u32_e32 v3, vcc, s0, v3
	v_addc_co_u32_e32 v4, vcc, v5, v4, vcc
	global_load_dword v5, v[0:1], off
	global_load_dword v6, v[3:4], off
	s_waitcnt vmcnt(0)
	v_mul_f32_e32 v6, v5, v6
	v_cmp_neq_f32_e32 vcc, 0, v6
	s_and_saveexec_b64 s[2:3], vcc
	s_cbranch_execz .LBB2_3
; %bb.2:
	global_load_dword v6, v[0:1], off offset:24
	global_load_dword v7, v[3:4], off offset:4
	;; [unrolled: 1-line block ×4, first 2 shown]
	s_waitcnt vmcnt(1)
	v_sub_f32_e32 v3, v7, v8
	s_waitcnt vmcnt(0)
	v_fma_f32 v3, -v6, v3, v9
	global_store_dword v[0:1], v3, off offset:12
.LBB2_3:
	s_or_b64 exec, exec, s[2:3]
	v_mul_lo_u32 v2, v2, 12
	v_mov_b32_e32 v4, s1
	v_ashrrev_i32_e32 v3, 31, v2
	v_lshlrev_b64 v[2:3], 2, v[2:3]
	v_add_co_u32_e32 v2, vcc, s0, v2
	v_addc_co_u32_e32 v3, vcc, v4, v3, vcc
	global_load_dword v4, v[2:3], off
	s_waitcnt vmcnt(0)
	v_mul_f32_e32 v4, v5, v4
	v_cmp_neq_f32_e32 vcc, 0, v4
	s_and_b64 exec, exec, vcc
	s_cbranch_execz .LBB2_5
; %bb.4:
	global_load_dword v4, v[0:1], off offset:32
	global_load_dword v5, v[2:3], off offset:4
	;; [unrolled: 1-line block ×4, first 2 shown]
	s_waitcnt vmcnt(1)
	v_sub_f32_e32 v2, v5, v6
	s_waitcnt vmcnt(0)
	v_fma_f32 v2, -v4, v2, v7
	global_store_dword v[0:1], v2, off offset:16
.LBB2_5:
	s_endpgm
	.section	.rodata,"a",@progbits
	.p2align	6, 0x0
	.amdhsa_kernel _Z7kernel3PfS_iiiii
		.amdhsa_group_segment_fixed_size 0
		.amdhsa_private_segment_fixed_size 0
		.amdhsa_kernarg_size 296
		.amdhsa_user_sgpr_count 6
		.amdhsa_user_sgpr_private_segment_buffer 1
		.amdhsa_user_sgpr_dispatch_ptr 0
		.amdhsa_user_sgpr_queue_ptr 0
		.amdhsa_user_sgpr_kernarg_segment_ptr 1
		.amdhsa_user_sgpr_dispatch_id 0
		.amdhsa_user_sgpr_flat_scratch_init 0
		.amdhsa_user_sgpr_private_segment_size 0
		.amdhsa_uses_dynamic_stack 0
		.amdhsa_system_sgpr_private_segment_wavefront_offset 0
		.amdhsa_system_sgpr_workgroup_id_x 1
		.amdhsa_system_sgpr_workgroup_id_y 1
		.amdhsa_system_sgpr_workgroup_id_z 0
		.amdhsa_system_sgpr_workgroup_info 0
		.amdhsa_system_vgpr_workitem_id 1
		.amdhsa_next_free_vgpr 10
		.amdhsa_next_free_sgpr 10
		.amdhsa_reserve_vcc 1
		.amdhsa_reserve_flat_scratch 0
		.amdhsa_float_round_mode_32 0
		.amdhsa_float_round_mode_16_64 0
		.amdhsa_float_denorm_mode_32 3
		.amdhsa_float_denorm_mode_16_64 3
		.amdhsa_dx10_clamp 1
		.amdhsa_ieee_mode 1
		.amdhsa_fp16_overflow 0
		.amdhsa_exception_fp_ieee_invalid_op 0
		.amdhsa_exception_fp_denorm_src 0
		.amdhsa_exception_fp_ieee_div_zero 0
		.amdhsa_exception_fp_ieee_overflow 0
		.amdhsa_exception_fp_ieee_underflow 0
		.amdhsa_exception_fp_ieee_inexact 0
		.amdhsa_exception_int_div_zero 0
	.end_amdhsa_kernel
	.text
.Lfunc_end2:
	.size	_Z7kernel3PfS_iiiii, .Lfunc_end2-_Z7kernel3PfS_iiiii
                                        ; -- End function
	.set _Z7kernel3PfS_iiiii.num_vgpr, 10
	.set _Z7kernel3PfS_iiiii.num_agpr, 0
	.set _Z7kernel3PfS_iiiii.numbered_sgpr, 10
	.set _Z7kernel3PfS_iiiii.num_named_barrier, 0
	.set _Z7kernel3PfS_iiiii.private_seg_size, 0
	.set _Z7kernel3PfS_iiiii.uses_vcc, 1
	.set _Z7kernel3PfS_iiiii.uses_flat_scratch, 0
	.set _Z7kernel3PfS_iiiii.has_dyn_sized_stack, 0
	.set _Z7kernel3PfS_iiiii.has_recursion, 0
	.set _Z7kernel3PfS_iiiii.has_indirect_call, 0
	.section	.AMDGPU.csdata,"",@progbits
; Kernel info:
; codeLenInByte = 404
; TotalNumSgprs: 14
; NumVgprs: 10
; ScratchSize: 0
; MemoryBound: 0
; FloatMode: 240
; IeeeMode: 1
; LDSByteSize: 0 bytes/workgroup (compile time only)
; SGPRBlocks: 1
; VGPRBlocks: 2
; NumSGPRsForWavesPerEU: 14
; NumVGPRsForWavesPerEU: 10
; Occupancy: 10
; WaveLimiterHint : 0
; COMPUTE_PGM_RSRC2:SCRATCH_EN: 0
; COMPUTE_PGM_RSRC2:USER_SGPR: 6
; COMPUTE_PGM_RSRC2:TRAP_HANDLER: 0
; COMPUTE_PGM_RSRC2:TGID_X_EN: 1
; COMPUTE_PGM_RSRC2:TGID_Y_EN: 1
; COMPUTE_PGM_RSRC2:TGID_Z_EN: 0
; COMPUTE_PGM_RSRC2:TIDIG_COMP_CNT: 1
	.text
	.protected	_Z7kernel4PfPKfS1_S1_S1_PiS2_S2_S2_iif ; -- Begin function _Z7kernel4PfPKfS1_S1_S1_PiS2_S2_S2_iif
	.globl	_Z7kernel4PfPKfS1_S1_S1_PiS2_S2_S2_iif
	.p2align	8
	.type	_Z7kernel4PfPKfS1_S1_S1_PiS2_S2_S2_iif,@function
_Z7kernel4PfPKfS1_S1_S1_PiS2_S2_S2_iif: ; @_Z7kernel4PfPKfS1_S1_S1_PiS2_S2_S2_iif
; %bb.0:
	s_load_dwordx8 s[8:15], s[4:5], 0x28
	s_waitcnt lgkmcnt(0)
	s_load_dword s24, s[10:11], 0x0
	s_load_dwordx4 s[0:3], s[4:5], 0x48
	s_load_dwordx2 s[6:7], s[4:5], 0x0
	s_waitcnt lgkmcnt(0)
	s_cmp_lt_i32 s24, 3
	s_cselect_b64 s[16:17], -1, 0
	s_cmp_gt_i32 s1, 1
	s_cselect_b64 s[18:19], -1, 0
	s_and_b64 s[4:5], s[16:17], s[18:19]
	s_andn2_b64 vcc, exec, s[4:5]
	s_cbranch_vccnz .LBB3_3
; %bb.1:
	s_mul_i32 s3, s0, 12
	s_add_i32 s20, s1, -1
	s_mov_b32 s4, 0
	v_mov_b32_e32 v0, 0
.LBB3_2:                                ; =>This Inner Loop Header: Depth=1
	s_ashr_i32 s5, s4, 31
	s_lshl_b64 s[22:23], s[4:5], 2
	s_add_u32 s22, s6, s22
	s_addc_u32 s23, s7, s23
	s_add_i32 s4, s3, s4
	s_ashr_i32 s5, s4, 31
	s_lshl_b64 s[26:27], s[4:5], 2
	s_add_u32 s26, s6, s26
	s_addc_u32 s27, s7, s27
	global_load_dword v1, v0, s[22:23] offset:24
	global_load_dword v2, v0, s[26:27] offset:4
	;; [unrolled: 1-line block ×4, first 2 shown]
	s_add_i32 s20, s20, -1
	s_cmp_lg_u32 s20, 0
	s_waitcnt vmcnt(1)
	v_sub_f32_e32 v2, v2, v3
	s_waitcnt vmcnt(0)
	v_fma_f32 v1, -v1, v2, v4
	global_store_dword v0, v1, s[22:23] offset:12
	s_cbranch_scc1 .LBB3_2
.LBB3_3:
	s_load_dword s25, s[8:9], 0x0
	s_waitcnt lgkmcnt(0)
	s_cmp_lt_i32 s25, 3
	s_cselect_b64 s[4:5], -1, 0
	s_cmp_gt_i32 s25, 2
	s_cselect_b64 s[20:21], -1, 0
	s_cmp_lt_i32 s0, 1
	s_cselect_b64 s[22:23], -1, 0
	s_or_b64 s[20:21], s[22:23], s[20:21]
	s_and_b64 vcc, exec, s[20:21]
	s_cbranch_vccnz .LBB3_6
; %bb.4:
	s_add_u32 s20, s6, 12
	s_addc_u32 s21, s7, 0
	s_mul_i32 s22, s0, 12
	v_mov_b32_e32 v0, 0
	s_mov_b32 s3, s0
.LBB3_5:                                ; =>This Inner Loop Header: Depth=1
	s_ashr_i32 s23, s22, 31
	s_lshl_b64 s[26:27], s[22:23], 2
	s_add_u32 s26, s6, s26
	s_addc_u32 s27, s7, s27
	global_load_dword v1, v0, s[20:21]
	global_load_dword v2, v0, s[20:21] offset:12
	global_load_dword v3, v0, s[26:27] offset:4
	global_load_dword v4, v0, s[20:21] offset:-8
	s_add_i32 s3, s3, -1
	s_waitcnt vmcnt(0)
	v_sub_f32_e32 v3, v3, v4
	v_fma_f32 v1, -v2, v3, v1
	global_store_dword v0, v1, s[20:21]
	s_add_u32 s20, s20, 48
	s_addc_u32 s21, s21, 0
	s_add_i32 s22, s22, 12
	s_cmp_lg_u32 s3, 0
	s_cbranch_scc1 .LBB3_5
.LBB3_6:
	s_load_dword s22, s[14:15], 0x0
	s_add_i32 s3, s0, -1
	s_waitcnt lgkmcnt(0)
	s_cmp_lt_i32 s22, s3
	s_cselect_b64 s[20:21], -1, 0
	s_xor_b64 s[18:19], s[18:19], -1
	s_or_b64 s[18:19], s[20:21], s[18:19]
	s_and_b64 vcc, exec, s[18:19]
	s_cbranch_vccnz .LBB3_9
; %bb.7:
	s_add_i32 s18, s1, -1
	s_mul_i32 s19, s0, 12
	s_mul_i32 s20, s0, 24
	s_mov_b32 s21, -12
	v_mov_b32_e32 v0, 0
.LBB3_8:                                ; =>This Inner Loop Header: Depth=1
	s_add_i32 s26, s19, s21
	s_ashr_i32 s27, s26, 31
	s_lshl_b64 s[28:29], s[26:27], 2
	s_add_u32 s28, s6, s28
	s_addc_u32 s29, s7, s29
	s_add_i32 s30, s20, s21
	s_ashr_i32 s31, s30, 31
	s_lshl_b64 s[30:31], s[30:31], 2
	s_add_u32 s30, s6, s30
	s_addc_u32 s31, s7, s31
	global_load_dword v1, v0, s[28:29] offset:12
	global_load_dword v2, v0, s[28:29] offset:24
	;; [unrolled: 1-line block ×4, first 2 shown]
	s_add_i32 s18, s18, -1
	s_mov_b32 s21, s26
	s_cmp_lg_u32 s18, 0
	s_waitcnt vmcnt(0)
	v_sub_f32_e32 v3, v3, v4
	v_fma_f32 v1, -v2, v3, v1
	global_store_dword v0, v1, s[28:29] offset:12
	s_cbranch_scc1 .LBB3_8
.LBB3_9:
	s_cmp_gt_i32 s0, 1
	s_cselect_b64 s[18:19], -1, 0
	s_and_b64 s[20:21], s[4:5], s[18:19]
	s_andn2_b64 vcc, exec, s[20:21]
	s_cbranch_vccnz .LBB3_12
; %bb.10:
	s_mov_b32 s20, 12
	v_mov_b32_e32 v0, 0
	s_mov_b32 s21, 0
	s_mov_b32 s23, s3
.LBB3_11:                               ; =>This Inner Loop Header: Depth=1
	s_add_i32 s26, s20, -8
	s_ashr_i32 s27, s26, 31
	s_lshl_b64 s[26:27], s[26:27], 2
	s_add_u32 s26, s6, s26
	s_addc_u32 s27, s7, s27
	s_add_i32 s28, s20, -4
	s_ashr_i32 s29, s28, 31
	s_lshl_b64 s[28:29], s[28:29], 2
	s_add_u32 s28, s6, s28
	s_addc_u32 s29, s7, s29
	s_lshl_b64 s[30:31], s[20:21], 2
	global_load_dword v1, v0, s[26:27]
	global_load_dword v2, v0, s[28:29]
	s_add_u32 s28, s6, s30
	s_addc_u32 s29, s7, s31
	s_add_i32 s30, s20, -11
	s_ashr_i32 s31, s30, 31
	global_load_dword v3, v0, s[28:29] offset:4
	s_lshl_b64 s[28:29], s[30:31], 2
	s_add_u32 s28, s6, s28
	s_addc_u32 s29, s7, s29
	global_load_dword v4, v0, s[28:29]
	s_add_i32 s23, s23, -1
	s_add_i32 s20, s20, 12
	s_cmp_lg_u32 s23, 0
	s_waitcnt vmcnt(0)
	v_sub_f32_e32 v3, v3, v4
	v_fma_f32 v1, -v2, v3, v1
	global_store_dword v0, v1, s[26:27]
	s_cbranch_scc1 .LBB3_11
.LBB3_12:
	s_cmp_lt_i32 s1, 1
	s_cselect_b64 s[20:21], -1, 0
	s_xor_b64 s[16:17], s[16:17], -1
	s_or_b64 s[16:17], s[20:21], s[16:17]
	s_and_b64 vcc, exec, s[16:17]
	s_cbranch_vccnz .LBB3_15
; %bb.13:
	s_mul_i32 s20, s0, 12
	s_mov_b32 s16, 0
	v_mov_b32_e32 v0, 0
	s_mov_b32 s21, s1
.LBB3_14:                               ; =>This Inner Loop Header: Depth=1
	s_ashr_i32 s17, s16, 31
	s_lshl_b64 s[26:27], s[16:17], 2
	s_add_u32 s26, s6, s26
	s_addc_u32 s27, s7, s27
	global_load_dword v1, v0, s[26:27] offset:32
	global_load_dword v2, v0, s[26:27] offset:52
	;; [unrolled: 1-line block ×4, first 2 shown]
	s_add_i32 s21, s21, -1
	s_add_i32 s16, s16, s20
	s_cmp_lg_u32 s21, 0
	s_waitcnt vmcnt(1)
	v_sub_f32_e32 v2, v2, v3
	s_waitcnt vmcnt(0)
	v_fma_f32 v1, -v1, v2, v4
	global_store_dword v0, v1, s[26:27] offset:16
	s_cbranch_scc1 .LBB3_14
.LBB3_15:
	s_load_dword s20, s[12:13], 0x0
	s_add_i32 s1, s1, -1
	s_waitcnt lgkmcnt(0)
	s_cmp_lt_i32 s20, s1
	s_cselect_b64 s[16:17], -1, 0
	s_xor_b64 s[18:19], s[18:19], -1
	s_or_b64 s[16:17], s[16:17], s[18:19]
	s_and_b64 vcc, exec, s[16:17]
	s_cbranch_vccnz .LBB3_18
; %bb.16:
	s_mul_i32 s16, s0, s1
	s_mul_i32 s16, s16, 12
	s_add_i32 s16, s16, 12
	v_mov_b32_e32 v0, 0
	s_mov_b32 s18, s3
.LBB3_17:                               ; =>This Inner Loop Header: Depth=1
	s_add_i32 s26, s16, -8
	s_ashr_i32 s27, s26, 31
	s_lshl_b64 s[26:27], s[26:27], 2
	s_add_u32 s26, s6, s26
	s_addc_u32 s27, s7, s27
	s_add_i32 s28, s16, -4
	s_ashr_i32 s29, s28, 31
	s_lshl_b64 s[28:29], s[28:29], 2
	s_add_u32 s28, s6, s28
	s_addc_u32 s29, s7, s29
	s_ashr_i32 s17, s16, 31
	global_load_dword v1, v0, s[26:27]
	global_load_dword v2, v0, s[28:29]
	s_lshl_b64 s[28:29], s[16:17], 2
	s_add_u32 s28, s6, s28
	s_addc_u32 s29, s7, s29
	s_add_i32 s30, s16, -11
	s_ashr_i32 s31, s30, 31
	global_load_dword v3, v0, s[28:29] offset:4
	s_lshl_b64 s[28:29], s[30:31], 2
	s_add_u32 s28, s6, s28
	s_addc_u32 s29, s7, s29
	global_load_dword v4, v0, s[28:29]
	s_add_i32 s18, s18, -1
	s_add_i32 s16, s16, 12
	s_cmp_lg_u32 s18, 0
	s_waitcnt vmcnt(0)
	v_sub_f32_e32 v3, v3, v4
	v_fma_f32 v1, -v2, v3, v1
	global_store_dword v0, v1, s[26:27]
	s_cbranch_scc1 .LBB3_17
.LBB3_18:
	s_cmp_gt_i32 s24, s22
	s_cselect_b64 s[16:17], -1, 0
	s_or_b64 s[4:5], s[4:5], s[16:17]
	s_and_b64 vcc, exec, s[4:5]
	s_cbranch_vccnz .LBB3_25
; %bb.19:
	s_add_i32 s4, s25, 1
	s_mul_i32 s4, s0, s4
	s_mul_i32 s4, s4, 12
	;; [unrolled: 1-line block ×3, first 2 shown]
	s_add_i32 s4, s4, s5
	s_add_i32 s21, s24, -1
	s_add_i32 s4, s4, -11
	v_mov_b32_e32 v0, 0
	s_branch .LBB3_21
.LBB3_20:                               ;   in Loop: Header=BB3_21 Depth=1
	s_andn2_b64 vcc, exec, s[18:19]
	s_cbranch_vccz .LBB3_23
.LBB3_21:                               ; =>This Inner Loop Header: Depth=1
	s_ashr_i32 s5, s4, 31
	s_lshl_b64 s[16:17], s[4:5], 2
	s_add_u32 s16, s6, s16
	s_addc_u32 s17, s7, s17
	global_load_dword v1, v0, s[16:17]
	s_mov_b64 s[16:17], -1
	s_waitcnt vmcnt(0)
	v_cmp_ngt_f32_e64 s[18:19], |v1|, s2
	s_and_b64 vcc, exec, s[18:19]
	s_mov_b64 s[18:19], -1
	s_cbranch_vccz .LBB3_20
; %bb.22:                               ;   in Loop: Header=BB3_21 Depth=1
	s_add_i32 s21, s21, 1
	s_add_i32 s4, s4, 12
	s_cmp_ge_i32 s21, s22
	s_mov_b64 s[16:17], 0
	s_cselect_b64 s[18:19], -1, 0
	s_branch .LBB3_20
.LBB3_23:
	s_and_b64 vcc, exec, s[16:17]
	s_cbranch_vccz .LBB3_25
; %bb.24:
	s_add_i32 s4, s25, -1
	v_mov_b32_e32 v0, 0
	v_mov_b32_e32 v1, s4
	global_store_dword v0, v1, s[8:9]
	global_load_dword v1, v0, s[12:13]
	s_nop 0
	global_load_dword v2, v0, s[10:11]
	s_waitcnt vmcnt(1)
	v_readfirstlane_b32 s20, v1
	s_waitcnt vmcnt(0)
	v_readfirstlane_b32 s24, v2
.LBB3_25:
	s_cmp_ge_i32 s20, s1
	s_cbranch_scc1 .LBB3_33
; %bb.26:
	v_mov_b32_e32 v0, 0
	global_load_dword v1, v0, s[14:15]
	s_waitcnt vmcnt(0)
	v_cmp_gt_i32_e32 vcc, s24, v1
	s_cbranch_vccnz .LBB3_33
; %bb.27:
	s_add_i32 s4, s20, -3
	s_mul_i32 s4, s0, s4
	s_mul_i32 s4, s4, 12
	;; [unrolled: 1-line block ×3, first 2 shown]
	s_add_i32 s4, s4, s5
	s_add_i32 s1, s24, -1
	s_add_i32 s4, s4, -11
	s_branch .LBB3_29
.LBB3_28:                               ;   in Loop: Header=BB3_29 Depth=1
	s_andn2_b64 vcc, exec, s[18:19]
	s_cbranch_vccz .LBB3_31
.LBB3_29:                               ; =>This Inner Loop Header: Depth=1
	s_ashr_i32 s5, s4, 31
	s_lshl_b64 s[16:17], s[4:5], 2
	s_add_u32 s16, s6, s16
	s_addc_u32 s17, s7, s17
	global_load_dword v2, v0, s[16:17]
	s_mov_b64 s[16:17], -1
	s_waitcnt vmcnt(0)
	v_cmp_ngt_f32_e64 s[18:19], |v2|, s2
	s_and_b64 vcc, exec, s[18:19]
	s_mov_b64 s[18:19], -1
	s_cbranch_vccz .LBB3_28
; %bb.30:                               ;   in Loop: Header=BB3_29 Depth=1
	s_add_i32 s1, s1, 1
	s_add_i32 s4, s4, 12
	s_mov_b64 s[16:17], 0
	v_cmp_ge_i32_e64 s[18:19], s1, v1
	s_branch .LBB3_28
.LBB3_31:
	s_and_b64 vcc, exec, s[16:17]
	s_cbranch_vccz .LBB3_33
; %bb.32:
	s_add_i32 s20, s20, 1
	v_mov_b32_e32 v0, 0
	v_mov_b32_e32 v1, s20
	global_store_dword v0, v1, s[12:13]
	global_load_dword v0, v0, s[10:11]
	s_waitcnt vmcnt(0)
	v_readfirstlane_b32 s24, v0
.LBB3_33:
	s_cmp_lt_i32 s24, 3
	s_cbranch_scc1 .LBB3_41
; %bb.34:
	v_mov_b32_e32 v0, 0
	global_load_dword v1, v0, s[8:9]
	s_waitcnt vmcnt(0)
	v_cmp_lt_i32_e32 vcc, s20, v1
	v_readfirstlane_b32 s1, v1
	s_cbranch_vccnz .LBB3_41
; %bb.35:
	s_add_i32 s1, s1, -1
	s_mul_i32 s21, s0, 12
	s_mul_i32 s4, s21, s1
	;; [unrolled: 1-line block ×3, first 2 shown]
	s_add_i32 s4, s4, s5
	s_branch .LBB3_37
.LBB3_36:                               ;   in Loop: Header=BB3_37 Depth=1
	s_andn2_b64 vcc, exec, s[18:19]
	s_cbranch_vccz .LBB3_39
.LBB3_37:                               ; =>This Inner Loop Header: Depth=1
	s_ashr_i32 s5, s4, 31
	s_lshl_b64 s[16:17], s[4:5], 2
	s_add_u32 s16, s6, s16
	s_addc_u32 s17, s7, s17
	global_load_dword v1, v0, s[16:17] offset:52
	s_mov_b64 s[16:17], -1
	s_waitcnt vmcnt(0)
	v_cmp_ngt_f32_e64 s[18:19], |v1|, s2
	s_and_b64 vcc, exec, s[18:19]
	s_mov_b64 s[18:19], -1
	s_cbranch_vccz .LBB3_36
; %bb.38:                               ;   in Loop: Header=BB3_37 Depth=1
	s_add_i32 s1, s1, 1
	s_add_i32 s4, s4, s21
	s_cmp_ge_i32 s1, s20
	s_mov_b64 s[16:17], 0
	s_cselect_b64 s[18:19], -1, 0
	s_branch .LBB3_36
.LBB3_39:
	s_and_b64 vcc, exec, s[16:17]
	s_cbranch_vccz .LBB3_41
; %bb.40:
	s_add_i32 s1, s24, -1
	v_mov_b32_e32 v0, 0
	v_mov_b32_e32 v1, s1
	global_store_dword v0, v1, s[10:11]
.LBB3_41:
	v_mov_b32_e32 v1, 0
	global_load_dword v0, v1, s[14:15]
	s_waitcnt vmcnt(0)
	v_cmp_le_i32_e32 vcc, s3, v0
	v_readfirstlane_b32 s3, v0
	s_cbranch_vccnz .LBB3_49
; %bb.42:
	global_load_dword v2, v1, s[8:9]
	global_load_dword v0, v1, s[12:13]
	s_waitcnt vmcnt(1)
	v_readfirstlane_b32 s1, v2
	s_waitcnt vmcnt(0)
	v_cmp_gt_i32_e32 vcc, v2, v0
	s_cbranch_vccnz .LBB3_49
; %bb.43:
	s_add_i32 s10, s1, -1
	s_mul_i32 s11, s0, 12
	s_mul_i32 s0, s11, s10
	;; [unrolled: 1-line block ×3, first 2 shown]
	s_add_i32 s0, s0, s1
	s_sub_i32 s0, s0, 35
	v_mov_b32_e32 v1, 0
	s_branch .LBB3_45
.LBB3_44:                               ;   in Loop: Header=BB3_45 Depth=1
	s_andn2_b64 vcc, exec, s[8:9]
	s_cbranch_vccz .LBB3_47
.LBB3_45:                               ; =>This Inner Loop Header: Depth=1
	s_ashr_i32 s1, s0, 31
	s_lshl_b64 s[4:5], s[0:1], 2
	s_add_u32 s4, s6, s4
	s_addc_u32 s5, s7, s5
	global_load_dword v2, v1, s[4:5]
	s_mov_b64 s[4:5], -1
	s_waitcnt vmcnt(0)
	v_cmp_ngt_f32_e64 s[8:9], |v2|, s2
	s_and_b64 vcc, exec, s[8:9]
	s_mov_b64 s[8:9], -1
	s_cbranch_vccz .LBB3_44
; %bb.46:                               ;   in Loop: Header=BB3_45 Depth=1
	s_add_i32 s10, s10, 1
	s_add_i32 s0, s0, s11
	s_mov_b64 s[4:5], 0
	v_cmp_ge_i32_e64 s[8:9], s10, v0
	s_branch .LBB3_44
.LBB3_47:
	s_and_b64 vcc, exec, s[4:5]
	s_cbranch_vccz .LBB3_49
; %bb.48:
	s_add_i32 s0, s3, 1
	v_mov_b32_e32 v0, 0
	v_mov_b32_e32 v1, s0
	global_store_dword v0, v1, s[14:15]
.LBB3_49:
	s_endpgm
	.section	.rodata,"a",@progbits
	.p2align	6, 0x0
	.amdhsa_kernel _Z7kernel4PfPKfS1_S1_S1_PiS2_S2_S2_iif
		.amdhsa_group_segment_fixed_size 0
		.amdhsa_private_segment_fixed_size 0
		.amdhsa_kernarg_size 84
		.amdhsa_user_sgpr_count 6
		.amdhsa_user_sgpr_private_segment_buffer 1
		.amdhsa_user_sgpr_dispatch_ptr 0
		.amdhsa_user_sgpr_queue_ptr 0
		.amdhsa_user_sgpr_kernarg_segment_ptr 1
		.amdhsa_user_sgpr_dispatch_id 0
		.amdhsa_user_sgpr_flat_scratch_init 0
		.amdhsa_user_sgpr_private_segment_size 0
		.amdhsa_uses_dynamic_stack 0
		.amdhsa_system_sgpr_private_segment_wavefront_offset 0
		.amdhsa_system_sgpr_workgroup_id_x 1
		.amdhsa_system_sgpr_workgroup_id_y 0
		.amdhsa_system_sgpr_workgroup_id_z 0
		.amdhsa_system_sgpr_workgroup_info 0
		.amdhsa_system_vgpr_workitem_id 0
		.amdhsa_next_free_vgpr 5
		.amdhsa_next_free_sgpr 32
		.amdhsa_reserve_vcc 1
		.amdhsa_reserve_flat_scratch 0
		.amdhsa_float_round_mode_32 0
		.amdhsa_float_round_mode_16_64 0
		.amdhsa_float_denorm_mode_32 3
		.amdhsa_float_denorm_mode_16_64 3
		.amdhsa_dx10_clamp 1
		.amdhsa_ieee_mode 1
		.amdhsa_fp16_overflow 0
		.amdhsa_exception_fp_ieee_invalid_op 0
		.amdhsa_exception_fp_denorm_src 0
		.amdhsa_exception_fp_ieee_div_zero 0
		.amdhsa_exception_fp_ieee_overflow 0
		.amdhsa_exception_fp_ieee_underflow 0
		.amdhsa_exception_fp_ieee_inexact 0
		.amdhsa_exception_int_div_zero 0
	.end_amdhsa_kernel
	.text
.Lfunc_end3:
	.size	_Z7kernel4PfPKfS1_S1_S1_PiS2_S2_S2_iif, .Lfunc_end3-_Z7kernel4PfPKfS1_S1_S1_PiS2_S2_S2_iif
                                        ; -- End function
	.set _Z7kernel4PfPKfS1_S1_S1_PiS2_S2_S2_iif.num_vgpr, 5
	.set _Z7kernel4PfPKfS1_S1_S1_PiS2_S2_S2_iif.num_agpr, 0
	.set _Z7kernel4PfPKfS1_S1_S1_PiS2_S2_S2_iif.numbered_sgpr, 32
	.set _Z7kernel4PfPKfS1_S1_S1_PiS2_S2_S2_iif.num_named_barrier, 0
	.set _Z7kernel4PfPKfS1_S1_S1_PiS2_S2_S2_iif.private_seg_size, 0
	.set _Z7kernel4PfPKfS1_S1_S1_PiS2_S2_S2_iif.uses_vcc, 1
	.set _Z7kernel4PfPKfS1_S1_S1_PiS2_S2_S2_iif.uses_flat_scratch, 0
	.set _Z7kernel4PfPKfS1_S1_S1_PiS2_S2_S2_iif.has_dyn_sized_stack, 0
	.set _Z7kernel4PfPKfS1_S1_S1_PiS2_S2_S2_iif.has_recursion, 0
	.set _Z7kernel4PfPKfS1_S1_S1_PiS2_S2_S2_iif.has_indirect_call, 0
	.section	.AMDGPU.csdata,"",@progbits
; Kernel info:
; codeLenInByte = 1828
; TotalNumSgprs: 36
; NumVgprs: 5
; ScratchSize: 0
; MemoryBound: 0
; FloatMode: 240
; IeeeMode: 1
; LDSByteSize: 0 bytes/workgroup (compile time only)
; SGPRBlocks: 4
; VGPRBlocks: 1
; NumSGPRsForWavesPerEU: 36
; NumVGPRsForWavesPerEU: 5
; Occupancy: 10
; WaveLimiterHint : 0
; COMPUTE_PGM_RSRC2:SCRATCH_EN: 0
; COMPUTE_PGM_RSRC2:USER_SGPR: 6
; COMPUTE_PGM_RSRC2:TRAP_HANDLER: 0
; COMPUTE_PGM_RSRC2:TGID_X_EN: 1
; COMPUTE_PGM_RSRC2:TGID_Y_EN: 0
; COMPUTE_PGM_RSRC2:TGID_Z_EN: 0
; COMPUTE_PGM_RSRC2:TIDIG_COMP_CNT: 0
	.section	.AMDGPU.gpr_maximums,"",@progbits
	.set amdgpu.max_num_vgpr, 0
	.set amdgpu.max_num_agpr, 0
	.set amdgpu.max_num_sgpr, 0
	.section	.AMDGPU.csdata,"",@progbits
	.type	__hip_cuid_f15f8fb0f09bd3a0,@object ; @__hip_cuid_f15f8fb0f09bd3a0
	.section	.bss,"aw",@nobits
	.globl	__hip_cuid_f15f8fb0f09bd3a0
__hip_cuid_f15f8fb0f09bd3a0:
	.byte	0                               ; 0x0
	.size	__hip_cuid_f15f8fb0f09bd3a0, 1

	.ident	"AMD clang version 22.0.0git (https://github.com/RadeonOpenCompute/llvm-project roc-7.2.4 26084 f58b06dce1f9c15707c5f808fd002e18c2accf7e)"
	.section	".note.GNU-stack","",@progbits
	.addrsig
	.addrsig_sym __hip_cuid_f15f8fb0f09bd3a0
	.amdgpu_metadata
---
amdhsa.kernels:
  - .args:
      - .address_space:  global
        .offset:         0
        .size:           8
        .value_kind:     global_buffer
      - .address_space:  global
        .offset:         8
        .size:           8
        .value_kind:     global_buffer
      - .offset:         16
        .size:           4
        .value_kind:     by_value
      - .offset:         20
        .size:           4
        .value_kind:     by_value
      - .offset:         24
        .size:           4
        .value_kind:     by_value
      - .offset:         28
        .size:           4
        .value_kind:     by_value
      - .offset:         32
        .size:           4
        .value_kind:     by_value
      - .offset:         36
        .size:           4
        .value_kind:     by_value
      - .offset:         40
        .size:           4
        .value_kind:     by_value
      - .offset:         44
        .size:           4
        .value_kind:     by_value
      - .offset:         48
        .size:           4
        .value_kind:     hidden_block_count_x
      - .offset:         52
        .size:           4
        .value_kind:     hidden_block_count_y
      - .offset:         56
        .size:           4
        .value_kind:     hidden_block_count_z
      - .offset:         60
        .size:           2
        .value_kind:     hidden_group_size_x
      - .offset:         62
        .size:           2
        .value_kind:     hidden_group_size_y
      - .offset:         64
        .size:           2
        .value_kind:     hidden_group_size_z
      - .offset:         66
        .size:           2
        .value_kind:     hidden_remainder_x
      - .offset:         68
        .size:           2
        .value_kind:     hidden_remainder_y
      - .offset:         70
        .size:           2
        .value_kind:     hidden_remainder_z
      - .offset:         88
        .size:           8
        .value_kind:     hidden_global_offset_x
      - .offset:         96
        .size:           8
        .value_kind:     hidden_global_offset_y
      - .offset:         104
        .size:           8
        .value_kind:     hidden_global_offset_z
      - .offset:         112
        .size:           2
        .value_kind:     hidden_grid_dims
    .group_segment_fixed_size: 0
    .kernarg_segment_align: 8
    .kernarg_segment_size: 304
    .language:       OpenCL C
    .language_version:
      - 2
      - 0
    .max_flat_workgroup_size: 1024
    .name:           _Z6kernelPfS_iiiiiffi
    .private_segment_fixed_size: 0
    .sgpr_count:     20
    .sgpr_spill_count: 0
    .symbol:         _Z6kernelPfS_iiiiiffi.kd
    .uniform_work_group_size: 1
    .uses_dynamic_stack: false
    .vgpr_count:     13
    .vgpr_spill_count: 0
    .wavefront_size: 64
  - .args:
      - .address_space:  global
        .offset:         0
        .size:           8
        .value_kind:     global_buffer
      - .address_space:  global
        .offset:         8
        .size:           8
        .value_kind:     global_buffer
      - .address_space:  global
        .offset:         16
        .size:           8
        .value_kind:     global_buffer
      - .address_space:  global
        .offset:         24
        .size:           8
        .value_kind:     global_buffer
      - .address_space:  global
        .offset:         32
        .size:           8
        .value_kind:     global_buffer
      - .offset:         40
        .size:           4
        .value_kind:     by_value
      - .offset:         44
        .size:           4
        .value_kind:     by_value
      - .offset:         48
        .size:           4
        .value_kind:     by_value
      - .offset:         52
        .size:           4
        .value_kind:     by_value
      - .offset:         56
        .size:           4
        .value_kind:     by_value
      - .offset:         60
        .size:           4
        .value_kind:     by_value
    .group_segment_fixed_size: 0
    .kernarg_segment_align: 8
    .kernarg_segment_size: 64
    .language:       OpenCL C
    .language_version:
      - 2
      - 0
    .max_flat_workgroup_size: 1024
    .name:           _Z7kernel2PfPKfS1_S1_S1_iiiiii
    .private_segment_fixed_size: 0
    .sgpr_count:     50
    .sgpr_spill_count: 0
    .symbol:         _Z7kernel2PfPKfS1_S1_S1_iiiiii.kd
    .uniform_work_group_size: 1
    .uses_dynamic_stack: false
    .vgpr_count:     23
    .vgpr_spill_count: 0
    .wavefront_size: 64
  - .args:
      - .address_space:  global
        .offset:         0
        .size:           8
        .value_kind:     global_buffer
      - .address_space:  global
        .offset:         8
        .size:           8
        .value_kind:     global_buffer
      - .offset:         16
        .size:           4
        .value_kind:     by_value
      - .offset:         20
        .size:           4
        .value_kind:     by_value
      - .offset:         24
        .size:           4
        .value_kind:     by_value
      - .offset:         28
        .size:           4
        .value_kind:     by_value
      - .offset:         32
        .size:           4
        .value_kind:     by_value
      - .offset:         40
        .size:           4
        .value_kind:     hidden_block_count_x
      - .offset:         44
        .size:           4
        .value_kind:     hidden_block_count_y
      - .offset:         48
        .size:           4
        .value_kind:     hidden_block_count_z
      - .offset:         52
        .size:           2
        .value_kind:     hidden_group_size_x
      - .offset:         54
        .size:           2
        .value_kind:     hidden_group_size_y
      - .offset:         56
        .size:           2
        .value_kind:     hidden_group_size_z
      - .offset:         58
        .size:           2
        .value_kind:     hidden_remainder_x
      - .offset:         60
        .size:           2
        .value_kind:     hidden_remainder_y
      - .offset:         62
        .size:           2
        .value_kind:     hidden_remainder_z
      - .offset:         80
        .size:           8
        .value_kind:     hidden_global_offset_x
      - .offset:         88
        .size:           8
        .value_kind:     hidden_global_offset_y
      - .offset:         96
        .size:           8
        .value_kind:     hidden_global_offset_z
      - .offset:         104
        .size:           2
        .value_kind:     hidden_grid_dims
    .group_segment_fixed_size: 0
    .kernarg_segment_align: 8
    .kernarg_segment_size: 296
    .language:       OpenCL C
    .language_version:
      - 2
      - 0
    .max_flat_workgroup_size: 1024
    .name:           _Z7kernel3PfS_iiiii
    .private_segment_fixed_size: 0
    .sgpr_count:     14
    .sgpr_spill_count: 0
    .symbol:         _Z7kernel3PfS_iiiii.kd
    .uniform_work_group_size: 1
    .uses_dynamic_stack: false
    .vgpr_count:     10
    .vgpr_spill_count: 0
    .wavefront_size: 64
  - .args:
      - .address_space:  global
        .offset:         0
        .size:           8
        .value_kind:     global_buffer
      - .address_space:  global
        .offset:         8
        .size:           8
        .value_kind:     global_buffer
      - .address_space:  global
        .offset:         16
        .size:           8
        .value_kind:     global_buffer
      - .address_space:  global
        .offset:         24
        .size:           8
        .value_kind:     global_buffer
      - .address_space:  global
        .offset:         32
        .size:           8
        .value_kind:     global_buffer
      - .address_space:  global
        .offset:         40
        .size:           8
        .value_kind:     global_buffer
      - .address_space:  global
        .offset:         48
        .size:           8
        .value_kind:     global_buffer
      - .address_space:  global
        .offset:         56
        .size:           8
        .value_kind:     global_buffer
      - .address_space:  global
        .offset:         64
        .size:           8
        .value_kind:     global_buffer
      - .offset:         72
        .size:           4
        .value_kind:     by_value
      - .offset:         76
        .size:           4
        .value_kind:     by_value
      - .offset:         80
        .size:           4
        .value_kind:     by_value
    .group_segment_fixed_size: 0
    .kernarg_segment_align: 8
    .kernarg_segment_size: 84
    .language:       OpenCL C
    .language_version:
      - 2
      - 0
    .max_flat_workgroup_size: 1024
    .name:           _Z7kernel4PfPKfS1_S1_S1_PiS2_S2_S2_iif
    .private_segment_fixed_size: 0
    .sgpr_count:     36
    .sgpr_spill_count: 0
    .symbol:         _Z7kernel4PfPKfS1_S1_S1_PiS2_S2_S2_iif.kd
    .uniform_work_group_size: 1
    .uses_dynamic_stack: false
    .vgpr_count:     5
    .vgpr_spill_count: 0
    .wavefront_size: 64
amdhsa.target:   amdgcn-amd-amdhsa--gfx906
amdhsa.version:
  - 1
  - 2
...

	.end_amdgpu_metadata
